;; amdgpu-corpus repo=zjin-lcf/HeCBench kind=compiled arch=gfx1250 opt=O3
	.amdgcn_target "amdgcn-amd-amdhsa--gfx1250"
	.amdhsa_code_object_version 6
	.text
	.protected	_Z16computeMinMaxLv1Pf  ; -- Begin function _Z16computeMinMaxLv1Pf
	.globl	_Z16computeMinMaxLv1Pf
	.p2align	8
	.type	_Z16computeMinMaxLv1Pf,@function
_Z16computeMinMaxLv1Pf:                 ; @_Z16computeMinMaxLv1Pf
; %bb.0:
	s_bfe_u32 s2, ttmp6, 0x40014
	s_lshr_b32 s3, ttmp7, 16
	s_add_co_i32 s2, s2, 1
	s_bfe_u32 s5, ttmp6, 0x4000c
	s_mul_i32 s2, s3, s2
	s_bfe_u32 s4, ttmp6, 0x40008
	s_add_co_i32 s5, s5, 1
	s_add_co_i32 s2, s4, s2
	s_and_b32 s4, ttmp6, 15
	s_mul_i32 s6, ttmp9, s5
	s_getreg_b32 s5, hwreg(HW_REG_IB_STS2, 6, 4)
	s_add_co_i32 s4, s4, s6
	s_cmp_eq_u32 s5, 0
	v_and_b32_e32 v1, 0x3ff, v0
	s_cselect_b32 s4, ttmp9, s4
	s_delay_alu instid0(SALU_CYCLE_1)
	s_mul_i32 s6, s4, 15
	s_delay_alu instid0(VALU_DEP_1) | instid1(SALU_CYCLE_1)
	v_add3_u32 v2, v1, s6, 0xfffffe00
	s_cselect_b32 s6, s3, s2
	s_delay_alu instid0(SALU_CYCLE_1) | instskip(NEXT) | instid1(SALU_CYCLE_1)
	s_mul_i32 s7, s6, 63
	s_add_co_i32 s2, s7, 0xfffffe00
	s_delay_alu instid0(VALU_DEP_1)
	v_cvt_f32_i32_e32 v4, v2
	s_cvt_f32_i32 s2, s2
	v_mov_b64_e32 v[2:3], 0x418000003b000000
	s_delay_alu instid0(VALU_DEP_2) | instid1(SALU_CYCLE_2)
	v_dual_mul_f32 v5, 0x3b000000, v4 :: v_dual_mov_b32 v4, s2
	s_load_b64 s[2:3], s[0:1], 0x0
	s_wait_xcnt 0x0
	s_mov_b32 s0, 0
	s_delay_alu instid0(VALU_DEP_1) | instskip(NEXT) | instid1(VALU_DEP_1)
	v_pk_mul_f32 v[2:3], v[4:5], v[2:3]
	v_dual_mov_b32 v4, v2 :: v_dual_mul_f32 v6, v2, v3
	s_delay_alu instid0(VALU_DEP_1) | instskip(NEXT) | instid1(VALU_DEP_2)
	v_pk_mul_f32 v[4:5], v[4:5], v[4:5]
	v_fma_f32 v2, -v2, v6, 1.0
	s_delay_alu instid0(VALU_DEP_2) | instskip(NEXT) | instid1(VALU_DEP_1)
	v_add_f32_e32 v7, v5, v4
	v_add_f32_e32 v4, v4, v7
	s_delay_alu instid0(VALU_DEP_1) | instskip(NEXT) | instid1(VALU_DEP_1)
	v_fmac_f32_e32 v2, -4.0, v4
	v_mov_b32_e32 v4, v2
.LBB0_1:                                ; =>This Inner Loop Header: Depth=1
	s_add_co_i32 s1, s7, s0
	s_add_co_i32 s0, s0, 9
	;; [unrolled: 1-line block ×4, first 2 shown]
	s_cvt_f32_i32 s8, s8
	s_add_co_i32 s10, s1, 0xfffffe03
	s_add_co_i32 s11, s1, 0xfffffe04
	s_cvt_f32_i32 s9, s9
	s_mul_f32 s8, s8, 0x3b000000
	s_cvt_f32_i32 s10, s10
	s_cvt_f32_i32 s11, s11
	s_add_co_i32 s14, s1, 0xfffffe07
	s_mul_f32 s9, s9, 0x3b000000
	v_mul_f32_e32 v6, s8, v3
	v_fma_f32 v7, s8, s8, v5
	s_mul_f32 s10, s10, 0x3b000000
	s_mul_f32 s11, s11, 0x3b000000
	s_cvt_f32_i32 s14, s14
	s_add_co_i32 s15, s1, 0xfffffe08
	s_add_co_i32 s12, s1, 0xfffffe05
	s_add_co_i32 s13, s1, 0xfffffe06
	s_addk_co_i32 s1, 0xfe09
	v_dual_mul_f32 v8, s9, v3 :: v_dual_mul_f32 v10, s10, v3
	v_mul_f32_e32 v12, s11, v3
	v_fma_f32 v13, s11, s11, v5
	v_fma_f32 v6, -s8, v6, 1.0
	v_fmac_f32_e64 v7, s8, s8
	s_cvt_f32_i32 s15, s15
	s_mul_f32 s14, s14, 0x3b000000
	s_cvt_f32_i32 s1, s1
	v_fma_f32 v9, s9, s9, v5
	s_mul_f32 s15, s15, 0x3b000000
	v_mul_f32_e32 v18, s14, v3
	v_fma_f32 v19, s14, s14, v5
	v_fma_f32 v12, -s11, v12, 1.0
	v_fmac_f32_e64 v13, s11, s11
	v_fmac_f32_e32 v6, -4.0, v7
	s_mul_f32 s1, s1, 0x3b000000
	v_mul_f32_e32 v20, s15, v3
	v_fma_f32 v8, -s9, v8, 1.0
	v_fmac_f32_e64 v9, s9, s9
	v_mul_f32_e32 v22, s1, v3
	v_fma_f32 v23, s1, s1, v5
	v_fma_f32 v18, -s14, v18, 1.0
	v_fmac_f32_e64 v19, s14, s14
	v_fmac_f32_e32 v12, -4.0, v13
	v_cmp_lt_f32_e32 vcc_lo, v6, v2
	s_cvt_f32_i32 s12, s12
	s_cvt_f32_i32 s13, s13
	v_fma_f32 v11, s10, s10, v5
	v_fmac_f32_e64 v23, s1, s1
	v_fmac_f32_e32 v8, -4.0, v9
	v_fma_f32 v22, -s1, v22, 1.0
	v_dual_fmac_f32 v18, -4.0, v19 :: v_dual_cndmask_b32 v2, v2, v6, vcc_lo
	v_cmp_gt_f32_e32 vcc_lo, v6, v4
	s_mul_f32 s12, s12, 0x3b000000
	s_mul_f32 s13, s13, 0x3b000000
	v_fma_f32 v10, -s10, v10, 1.0
	v_fmac_f32_e64 v11, s10, s10
	s_delay_alu instid0(SALU_CYCLE_1) | instskip(SKIP_3) | instid1(VALU_DEP_4)
	v_dual_mul_f32 v14, s12, v3 :: v_dual_mul_f32 v16, s13, v3
	v_fma_f32 v17, s13, s13, v5
	v_dual_fmac_f32 v22, -4.0, v23 :: v_dual_cndmask_b32 v4, v4, v6, vcc_lo
	v_cmp_lt_f32_e32 vcc_lo, v8, v2
	v_fma_f32 v16, -s13, v16, 1.0
	s_delay_alu instid0(VALU_DEP_4)
	v_fmac_f32_e64 v17, s13, s13
	v_fmac_f32_e32 v10, -4.0, v11
	v_fma_f32 v15, s12, s12, v5
	v_cndmask_b32_e32 v2, v2, v8, vcc_lo
	v_cmp_gt_f32_e32 vcc_lo, v8, v4
	v_fmac_f32_e32 v16, -4.0, v17
	v_fma_f32 v21, s15, s15, v5
	v_fma_f32 v14, -s12, v14, 1.0
	v_fmac_f32_e64 v15, s12, s12
	v_cndmask_b32_e32 v4, v4, v8, vcc_lo
	v_cmp_lt_f32_e32 vcc_lo, v10, v2
	v_fma_f32 v20, -s15, v20, 1.0
	v_fmac_f32_e64 v21, s15, s15
	v_fmac_f32_e32 v14, -4.0, v15
	s_cmp_eq_u32 s0, 63
	v_cndmask_b32_e32 v2, v2, v10, vcc_lo
	v_cmp_gt_f32_e32 vcc_lo, v10, v4
	v_dual_fmac_f32 v20, -4.0, v21 :: v_dual_cndmask_b32 v4, v4, v10, vcc_lo
	s_delay_alu instid0(VALU_DEP_3) | instskip(SKIP_1) | instid1(VALU_DEP_3)
	v_cmp_lt_f32_e32 vcc_lo, v12, v2
	v_cndmask_b32_e32 v2, v2, v12, vcc_lo
	v_cmp_gt_f32_e32 vcc_lo, v12, v4
	v_cndmask_b32_e32 v4, v4, v12, vcc_lo
	s_delay_alu instid0(VALU_DEP_3) | instskip(SKIP_1) | instid1(VALU_DEP_3)
	v_cmp_lt_f32_e32 vcc_lo, v14, v2
	v_cndmask_b32_e32 v2, v2, v14, vcc_lo
	v_cmp_gt_f32_e32 vcc_lo, v14, v4
	v_cndmask_b32_e32 v4, v4, v14, vcc_lo
	;; [unrolled: 5-line block ×6, first 2 shown]
	s_cbranch_scc0 .LBB0_1
; %bb.2:
	v_mbcnt_lo_u32_b32 v5, -1, 0
	s_delay_alu instid0(VALU_DEP_1) | instskip(SKIP_4) | instid1(VALU_DEP_1)
	v_lshl_or_b32 v3, v5, 2, 64
	v_cmp_gt_u32_e32 vcc_lo, 24, v5
	ds_bpermute_b32 v6, v3, v2
	ds_bpermute_b32 v3, v3, v4
	v_cndmask_b32_e64 v7, 0, 8, vcc_lo
	v_add_lshl_u32 v7, v7, v5, 2
	s_wait_dscnt 0x1
	v_cmp_gt_f32_e32 vcc_lo, v2, v6
	v_cndmask_b32_e32 v6, v2, v6, vcc_lo
	s_wait_dscnt 0x0
	v_cmp_lt_f32_e32 vcc_lo, v4, v3
	v_cndmask_b32_e32 v3, v4, v3, vcc_lo
	ds_bpermute_b32 v4, v7, v6
	v_cmp_gt_u32_e32 vcc_lo, 28, v5
	ds_bpermute_b32 v7, v7, v3
	v_cndmask_b32_e64 v2, 0, 4, vcc_lo
	s_delay_alu instid0(VALU_DEP_1)
	v_add_lshl_u32 v2, v2, v5, 2
	s_wait_dscnt 0x1
	v_cmp_gt_f32_e32 vcc_lo, v6, v4
	v_cndmask_b32_e32 v4, v6, v4, vcc_lo
	s_wait_dscnt 0x0
	v_cmp_lt_f32_e32 vcc_lo, v3, v7
	v_cndmask_b32_e32 v6, v3, v7, vcc_lo
	ds_bpermute_b32 v7, v2, v4
	v_cmp_gt_u32_e32 vcc_lo, 30, v5
	ds_bpermute_b32 v8, v2, v6
	v_cndmask_b32_e64 v3, 0, 2, vcc_lo
	s_delay_alu instid0(VALU_DEP_1)
	v_add_lshl_u32 v3, v3, v5, 2
	s_wait_dscnt 0x1
	v_cmp_gt_f32_e32 vcc_lo, v4, v7
	v_cndmask_b32_e32 v4, v4, v7, vcc_lo
	s_wait_dscnt 0x0
	v_cmp_lt_f32_e32 vcc_lo, v6, v8
	v_cndmask_b32_e32 v6, v6, v8, vcc_lo
	ds_bpermute_b32 v7, v3, v4
	v_cmp_ne_u32_e32 vcc_lo, 31, v5
	ds_bpermute_b32 v8, v3, v6
	v_add_co_ci_u32_e64 v5, null, 0, v5, vcc_lo
	s_delay_alu instid0(VALU_DEP_1)
	v_dual_lshrrev_b32 v9, 6, v0 :: v_dual_lshlrev_b32 v0, 2, v5
	s_wait_dscnt 0x1
	v_cmp_gt_f32_e32 vcc_lo, v4, v7
	v_cndmask_b32_e32 v5, v4, v7, vcc_lo
	s_wait_dscnt 0x0
	v_cmp_lt_f32_e32 vcc_lo, v6, v8
	v_and_b32_e32 v4, 0x3ff0, v9
	v_cndmask_b32_e32 v6, v6, v8, vcc_lo
	ds_bpermute_b32 v7, v0, v5
	v_add_nc_u32_e32 v4, v4, v1
	ds_bpermute_b32 v8, v0, v6
	v_and_b32_e32 v1, 31, v4
	s_delay_alu instid0(VALU_DEP_1)
	v_cmp_eq_u32_e32 vcc_lo, 0, v1
	s_and_saveexec_b32 s1, vcc_lo
	s_cbranch_execz .LBB0_4
; %bb.3:
	s_wait_dscnt 0x0
	v_cmp_lt_f32_e64 s0, v6, v8
	s_delay_alu instid0(VALU_DEP_1) | instskip(SKIP_1) | instid1(VALU_DEP_1)
	v_cndmask_b32_e64 v6, v6, v8, s0
	v_cmp_gt_f32_e64 s0, v5, v7
	v_dual_cndmask_b32 v5, v5, v7, s0 :: v_dual_lshrrev_b32 v7, 3, v4
	ds_store_2addr_b32 v7, v5, v6 offset1:8
.LBB0_4:
	s_or_b32 exec_lo, exec_lo, s1
	s_wait_dscnt 0x0
	s_barrier_signal -1
	s_barrier_wait -1
	s_mov_b32 s1, exec_lo
	v_cmpx_gt_u32_e32 32, v4
	s_cbranch_execz .LBB0_7
; %bb.5:
	v_lshlrev_b32_e32 v1, 2, v1
	ds_load_2addr_b32 v[4:5], v1 offset1:8
	s_wait_dscnt 0x0
	ds_bpermute_b32 v1, v2, v4
	ds_bpermute_b32 v2, v2, v5
	s_wait_dscnt 0x1
	v_cmp_gt_f32_e64 s0, v4, v1
	s_delay_alu instid0(VALU_DEP_1)
	v_cndmask_b32_e64 v1, v4, v1, s0
	s_wait_dscnt 0x0
	v_cmp_gt_f32_e64 s0, v2, v5
	ds_bpermute_b32 v4, v3, v1
	v_cndmask_b32_e64 v2, v5, v2, s0
	ds_bpermute_b32 v3, v3, v2
	s_wait_dscnt 0x1
	v_cmp_gt_f32_e64 s0, v1, v4
	s_delay_alu instid0(VALU_DEP_1) | instskip(SKIP_2) | instid1(VALU_DEP_1)
	v_cndmask_b32_e64 v1, v1, v4, s0
	s_wait_dscnt 0x0
	v_cmp_gt_f32_e64 s0, v3, v2
	v_cndmask_b32_e64 v3, v2, v3, s0
	ds_bpermute_b32 v2, v0, v1
	ds_bpermute_b32 v0, v0, v3
	s_and_b32 exec_lo, exec_lo, vcc_lo
	s_cbranch_execz .LBB0_7
; %bb.6:
	s_bfe_u32 s0, ttmp6, 0x40010
	s_and_b32 s1, ttmp7, 0xffff
	s_add_co_i32 s0, s0, 1
	s_bfe_u32 s7, ttmp6, 0x40004
	s_mul_i32 s0, s1, s0
	s_wait_dscnt 0x0
	v_cmp_gt_f32_e32 vcc_lo, v0, v3
	s_add_co_i32 s7, s7, s0
	s_cmp_eq_u32 s5, 0
	s_mul_i32 s0, s6, 0x44
	s_cselect_b32 s1, s1, s7
	v_dual_mov_b32 v4, 0 :: v_dual_cndmask_b32 v3, v3, v0
	s_add_co_i32 s0, s0, s1
	v_cmp_gt_f32_e32 vcc_lo, v1, v2
	s_mulk_i32 s0, 0x44
	s_mov_b32 s1, 0
	s_add_co_i32 s0, s0, s4
	s_delay_alu instid0(SALU_CYCLE_1)
	s_lshl_b32 s0, s0, 1
	v_cndmask_b32_e32 v2, v1, v2, vcc_lo
	s_lshl_b64 s[0:1], s[0:1], 2
	s_wait_kmcnt 0x0
	s_add_nc_u64 s[0:1], s[2:3], s[0:1]
	global_store_b64 v4, v[2:3], s[0:1]
.LBB0_7:
	s_endpgm
	.section	.rodata,"a",@progbits
	.p2align	6, 0x0
	.amdhsa_kernel _Z16computeMinMaxLv1Pf
		.amdhsa_group_segment_fixed_size 256
		.amdhsa_private_segment_fixed_size 0
		.amdhsa_kernarg_size 8
		.amdhsa_user_sgpr_count 2
		.amdhsa_user_sgpr_dispatch_ptr 0
		.amdhsa_user_sgpr_queue_ptr 0
		.amdhsa_user_sgpr_kernarg_segment_ptr 1
		.amdhsa_user_sgpr_dispatch_id 0
		.amdhsa_user_sgpr_kernarg_preload_length 0
		.amdhsa_user_sgpr_kernarg_preload_offset 0
		.amdhsa_user_sgpr_private_segment_size 0
		.amdhsa_wavefront_size32 1
		.amdhsa_uses_dynamic_stack 0
		.amdhsa_enable_private_segment 0
		.amdhsa_system_sgpr_workgroup_id_x 1
		.amdhsa_system_sgpr_workgroup_id_y 1
		.amdhsa_system_sgpr_workgroup_id_z 1
		.amdhsa_system_sgpr_workgroup_info 0
		.amdhsa_system_vgpr_workitem_id 1
		.amdhsa_next_free_vgpr 24
		.amdhsa_next_free_sgpr 16
		.amdhsa_named_barrier_count 0
		.amdhsa_reserve_vcc 1
		.amdhsa_float_round_mode_32 0
		.amdhsa_float_round_mode_16_64 0
		.amdhsa_float_denorm_mode_32 3
		.amdhsa_float_denorm_mode_16_64 3
		.amdhsa_fp16_overflow 0
		.amdhsa_memory_ordered 1
		.amdhsa_forward_progress 1
		.amdhsa_inst_pref_size 13
		.amdhsa_round_robin_scheduling 0
		.amdhsa_exception_fp_ieee_invalid_op 0
		.amdhsa_exception_fp_denorm_src 0
		.amdhsa_exception_fp_ieee_div_zero 0
		.amdhsa_exception_fp_ieee_overflow 0
		.amdhsa_exception_fp_ieee_underflow 0
		.amdhsa_exception_fp_ieee_inexact 0
		.amdhsa_exception_int_div_zero 0
	.end_amdhsa_kernel
	.text
.Lfunc_end0:
	.size	_Z16computeMinMaxLv1Pf, .Lfunc_end0-_Z16computeMinMaxLv1Pf
                                        ; -- End function
	.set _Z16computeMinMaxLv1Pf.num_vgpr, 24
	.set _Z16computeMinMaxLv1Pf.num_agpr, 0
	.set _Z16computeMinMaxLv1Pf.numbered_sgpr, 16
	.set _Z16computeMinMaxLv1Pf.num_named_barrier, 0
	.set _Z16computeMinMaxLv1Pf.private_seg_size, 0
	.set _Z16computeMinMaxLv1Pf.uses_vcc, 1
	.set _Z16computeMinMaxLv1Pf.uses_flat_scratch, 0
	.set _Z16computeMinMaxLv1Pf.has_dyn_sized_stack, 0
	.set _Z16computeMinMaxLv1Pf.has_recursion, 0
	.set _Z16computeMinMaxLv1Pf.has_indirect_call, 0
	.section	.AMDGPU.csdata,"",@progbits
; Kernel info:
; codeLenInByte = 1612
; TotalNumSgprs: 18
; NumVgprs: 24
; ScratchSize: 0
; MemoryBound: 0
; FloatMode: 240
; IeeeMode: 1
; LDSByteSize: 256 bytes/workgroup (compile time only)
; SGPRBlocks: 0
; VGPRBlocks: 1
; NumSGPRsForWavesPerEU: 18
; NumVGPRsForWavesPerEU: 24
; NamedBarCnt: 0
; Occupancy: 16
; WaveLimiterHint : 0
; COMPUTE_PGM_RSRC2:SCRATCH_EN: 0
; COMPUTE_PGM_RSRC2:USER_SGPR: 2
; COMPUTE_PGM_RSRC2:TRAP_HANDLER: 0
; COMPUTE_PGM_RSRC2:TGID_X_EN: 1
; COMPUTE_PGM_RSRC2:TGID_Y_EN: 1
; COMPUTE_PGM_RSRC2:TGID_Z_EN: 1
; COMPUTE_PGM_RSRC2:TIDIG_COMP_CNT: 1
	.text
	.protected	_Z10compactLv1fPKfPjS1_ ; -- Begin function _Z10compactLv1fPKfPjS1_
	.globl	_Z10compactLv1fPKfPjS1_
	.p2align	8
	.type	_Z10compactLv1fPKfPjS1_,@function
_Z10compactLv1fPKfPjS1_:                ; @_Z10compactLv1fPKfPjS1_
; %bb.0:
	s_bfe_u32 s4, ttmp6, 0x4000c
	s_clause 0x1
	s_load_b64 s[2:3], s[0:1], 0x8
	s_load_b32 s7, s[0:1], 0x0
	s_add_co_i32 s4, s4, 1
	s_and_b32 s5, ttmp6, 15
	s_mul_i32 s4, ttmp9, s4
	s_getreg_b32 s6, hwreg(HW_REG_IB_STS2, 6, 4)
	s_add_co_i32 s5, s5, s4
	s_cmp_eq_u32 s6, 0
	s_mov_b32 s6, 0
	s_cselect_b32 s4, ttmp9, s5
	s_mov_b32 s5, exec_lo
	v_lshl_add_u32 v1, s4, 7, v0
	s_delay_alu instid0(VALU_DEP_1)
	v_lshlrev_b32_e32 v2, 1, v1
	s_wait_kmcnt 0x0
	global_load_b32 v3, v2, s[2:3] scale_offset
	s_wait_loadcnt 0x0
	v_cmp_nge_f32_e64 s4, s7, v3
	v_cmpx_ge_f32_e32 s7, v3
	s_cbranch_execz .LBB1_2
; %bb.1:
	v_mov_b32_e32 v3, 0
	s_delay_alu instid0(VALU_DEP_1)
	v_lshl_add_u64 v[2:3], v[2:3], 2, s[2:3]
	s_and_not1_b32 s2, s4, exec_lo
	global_load_b32 v2, v[2:3], off offset:4
	s_wait_loadcnt 0x0
	v_cmp_nle_f32_e32 vcc_lo, s7, v2
	s_and_b32 s3, vcc_lo, exec_lo
	s_delay_alu instid0(SALU_CYCLE_1)
	s_or_b32 s4, s2, s3
.LBB1_2:
	s_or_b32 exec_lo, exec_lo, s5
	v_mov_b32_e32 v2, 1
	s_and_saveexec_b32 s2, s4
; %bb.3:
	v_mov_b32_e32 v2, 0
	s_mov_b32 s6, exec_lo
; %bb.4:
	s_or_b32 exec_lo, exec_lo, s2
	v_mbcnt_lo_u32_b32 v6, -1, 0
	s_mov_b32 s4, exec_lo
	s_delay_alu instid0(VALU_DEP_1) | instskip(SKIP_1) | instid1(VALU_DEP_2)
	v_dual_add_nc_u32 v3, -1, v6 :: v_dual_bitop2_b32 v4, 31, v0 bitop3:0x40
	v_add_nc_u32_e32 v7, -2, v6
	v_cmp_gt_i32_e32 vcc_lo, 0, v3
	v_cndmask_b32_e32 v3, v3, v6, vcc_lo
	s_delay_alu instid0(VALU_DEP_3) | instskip(NEXT) | instid1(VALU_DEP_2)
	v_cmp_gt_i32_e32 vcc_lo, 0, v7
	v_dual_lshlrev_b32 v3, 2, v3 :: v_dual_cndmask_b32 v7, v7, v6, vcc_lo
	v_cmp_eq_u32_e32 vcc_lo, 0, v4
	ds_bpermute_b32 v5, v3, v2
	s_wait_dscnt 0x0
	v_cndmask_b32_e64 v8, v5, 0, vcc_lo
	s_delay_alu instid0(VALU_DEP_1) | instskip(SKIP_3) | instid1(VALU_DEP_1)
	v_dual_lshlrev_b32 v5, 2, v7 :: v_dual_add_nc_u32 v2, v8, v2
	v_add_nc_u32_e32 v8, -4, v6
	ds_bpermute_b32 v7, v5, v2
	v_cmp_gt_i32_e64 s2, 0, v8
	v_cndmask_b32_e64 v8, v8, v6, s2
	v_cmp_gt_u32_e64 s2, 2, v4
	s_wait_dscnt 0x0
	s_delay_alu instid0(VALU_DEP_1) | instskip(NEXT) | instid1(VALU_DEP_1)
	v_cndmask_b32_e64 v7, v7, 0, s2
	v_dual_lshlrev_b32 v8, 2, v8 :: v_dual_add_nc_u32 v2, v7, v2
	ds_bpermute_b32 v7, v8, v2
	v_add_nc_u32_e32 v8, -8, v6
	s_delay_alu instid0(VALU_DEP_1) | instskip(NEXT) | instid1(VALU_DEP_1)
	v_cmp_gt_i32_e64 s3, 0, v8
	v_cndmask_b32_e64 v8, v8, v6, s3
	v_cmp_lt_u32_e64 s3, 3, v4
	s_wait_dscnt 0x0
	s_delay_alu instid0(VALU_DEP_1) | instskip(NEXT) | instid1(VALU_DEP_1)
	v_dual_cndmask_b32 v7, 0, v7, s3 :: v_dual_lshlrev_b32 v8, 2, v8
	v_add_nc_u32_e32 v2, v7, v2
	ds_bpermute_b32 v7, v8, v2
	v_add_nc_u32_e32 v8, -16, v6
	s_delay_alu instid0(VALU_DEP_1) | instskip(NEXT) | instid1(VALU_DEP_1)
	v_cmp_gt_i32_e64 s3, 0, v8
	v_cndmask_b32_e64 v6, v8, v6, s3
	v_cmp_lt_u32_e64 s3, 7, v4
	s_wait_dscnt 0x0
	s_delay_alu instid0(VALU_DEP_1) | instskip(SKIP_1) | instid1(VALU_DEP_2)
	v_dual_lshlrev_b32 v6, 2, v6 :: v_dual_cndmask_b32 v7, 0, v7, s3
	v_cmp_lt_u32_e64 s3, 15, v4
	v_add_nc_u32_e32 v2, v7, v2
	ds_bpermute_b32 v6, v6, v2
	s_wait_dscnt 0x0
	v_dual_cndmask_b32 v7, 0, v6, s3 :: v_dual_lshrrev_b32 v6, 5, v0
	s_delay_alu instid0(VALU_DEP_1)
	v_add_nc_u32_e32 v2, v7, v2
	v_cmpx_eq_u32_e32 31, v4
; %bb.5:
	s_delay_alu instid0(VALU_DEP_3)
	v_lshlrev_b32_e32 v7, 2, v6
	ds_store_b32 v7, v2
; %bb.6:
	s_or_b32 exec_lo, exec_lo, s4
	v_cmp_lt_u32_e64 s3, 31, v0
	s_mov_b32 s5, exec_lo
	s_wait_dscnt 0x0
	s_barrier_signal -1
	s_barrier_wait -1
	v_cmpx_gt_u32_e32 32, v0
	s_cbranch_execz .LBB1_8
; %bb.7:
	v_lshlrev_b32_e32 v4, 2, v4
	ds_load_b32 v7, v4
	s_wait_dscnt 0x0
	ds_bpermute_b32 v3, v3, v7
	s_wait_dscnt 0x0
	v_cndmask_b32_e64 v3, v3, 0, vcc_lo
	s_delay_alu instid0(VALU_DEP_1) | instskip(SKIP_3) | instid1(VALU_DEP_1)
	v_add_nc_u32_e32 v3, v3, v7
	ds_bpermute_b32 v5, v5, v3
	s_wait_dscnt 0x0
	v_cndmask_b32_e64 v5, v5, 0, s2
	v_add_nc_u32_e32 v3, v5, v3
	ds_store_b32 v4, v3
.LBB1_8:
	s_or_b32 exec_lo, exec_lo, s5
	s_wait_dscnt 0x0
	s_barrier_signal -1
	s_barrier_wait -1
	s_and_saveexec_b32 s2, s3
	s_cbranch_execz .LBB1_10
; %bb.9:
	v_lshl_add_u32 v3, v6, 2, -4
	ds_load_b32 v3, v3
	s_wait_dscnt 0x0
	v_add_nc_u32_e32 v2, v3, v2
.LBB1_10:
	s_or_b32 exec_lo, exec_lo, s2
	s_load_b64 s[4:5], s[0:1], 0x10
	v_cmp_eq_u32_e32 vcc_lo, 0x7f, v0
	s_delay_alu instid0(VALU_DEP_2) | instskip(SKIP_2) | instid1(SALU_CYCLE_1)
	v_cmp_ne_u32_e64 s2, 0, v2
	s_mov_b32 s3, 0
	s_and_b32 s7, vcc_lo, s2
	s_and_saveexec_b32 s2, s7
	s_cbranch_execz .LBB1_16
; %bb.11:
	s_wait_xcnt 0x0
	s_load_b64 s[0:1], s[0:1], 0x18
	s_mov_b32 s7, exec_lo
                                        ; implicit-def: $vgpr0
.LBB1_12:                               ; =>This Inner Loop Header: Depth=1
	s_delay_alu instid0(SALU_CYCLE_1) | instskip(NEXT) | instid1(SALU_CYCLE_1)
	s_ctz_i32_b32 s8, s7
	v_readlane_b32 s9, v2, s8
	s_lshl_b32 s10, 1, s8
	v_writelane_b32 v0, s3, s8
	s_and_not1_b32 s7, s7, s10
	s_add_co_i32 s3, s3, s9
	s_cmp_lg_u32 s7, 0
	s_cbranch_scc1 .LBB1_12
; %bb.13:
	v_mbcnt_lo_u32_b32 v3, exec_lo, 0
	s_delay_alu instid0(VALU_DEP_1) | instskip(SKIP_1) | instid1(SALU_CYCLE_1)
	v_cmp_eq_u32_e32 vcc_lo, 0, v3
                                        ; implicit-def: $vgpr3
	s_and_saveexec_b32 s7, vcc_lo
	s_xor_b32 s7, exec_lo, s7
	s_cbranch_execz .LBB1_15
; %bb.14:
	v_dual_mov_b32 v3, 0 :: v_dual_mov_b32 v4, s3
	s_wait_xcnt 0x0
	s_wait_kmcnt 0x0
	global_atomic_add_u32 v3, v3, v4, s[0:1] th:TH_ATOMIC_RETURN scope:SCOPE_DEV
.LBB1_15:
	s_wait_xcnt 0x0
	s_or_b32 exec_lo, exec_lo, s7
	s_wait_loadcnt 0x0
	s_wait_kmcnt 0x0
	v_readfirstlane_b32 s0, v3
	s_delay_alu instid0(VALU_DEP_1)
	v_dual_mov_b32 v3, 0 :: v_dual_add_nc_u32 v0, s0, v0
	ds_store_b32 v3, v0 offset:124
.LBB1_16:
	s_or_b32 exec_lo, exec_lo, s2
	s_wait_xcnt 0x0
	s_xor_b32 s0, s6, -1
	s_wait_dscnt 0x0
	s_barrier_signal -1
	s_barrier_wait -1
	s_and_saveexec_b32 s1, s0
	s_cbranch_execz .LBB1_18
; %bb.17:
	v_mov_b32_e32 v0, 0
	ds_load_b32 v0, v0 offset:124
	s_wait_dscnt 0x0
	v_add3_u32 v0, v2, v0, -1
	s_wait_kmcnt 0x0
	global_store_b32 v0, v1, s[4:5] scale_offset
.LBB1_18:
	s_endpgm
	.section	.rodata,"a",@progbits
	.p2align	6, 0x0
	.amdhsa_kernel _Z10compactLv1fPKfPjS1_
		.amdhsa_group_segment_fixed_size 128
		.amdhsa_private_segment_fixed_size 0
		.amdhsa_kernarg_size 32
		.amdhsa_user_sgpr_count 2
		.amdhsa_user_sgpr_dispatch_ptr 0
		.amdhsa_user_sgpr_queue_ptr 0
		.amdhsa_user_sgpr_kernarg_segment_ptr 1
		.amdhsa_user_sgpr_dispatch_id 0
		.amdhsa_user_sgpr_kernarg_preload_length 0
		.amdhsa_user_sgpr_kernarg_preload_offset 0
		.amdhsa_user_sgpr_private_segment_size 0
		.amdhsa_wavefront_size32 1
		.amdhsa_uses_dynamic_stack 0
		.amdhsa_enable_private_segment 0
		.amdhsa_system_sgpr_workgroup_id_x 1
		.amdhsa_system_sgpr_workgroup_id_y 0
		.amdhsa_system_sgpr_workgroup_id_z 0
		.amdhsa_system_sgpr_workgroup_info 0
		.amdhsa_system_vgpr_workitem_id 0
		.amdhsa_next_free_vgpr 9
		.amdhsa_next_free_sgpr 11
		.amdhsa_named_barrier_count 0
		.amdhsa_reserve_vcc 1
		.amdhsa_float_round_mode_32 0
		.amdhsa_float_round_mode_16_64 0
		.amdhsa_float_denorm_mode_32 3
		.amdhsa_float_denorm_mode_16_64 3
		.amdhsa_fp16_overflow 0
		.amdhsa_memory_ordered 1
		.amdhsa_forward_progress 1
		.amdhsa_inst_pref_size 8
		.amdhsa_round_robin_scheduling 0
		.amdhsa_exception_fp_ieee_invalid_op 0
		.amdhsa_exception_fp_denorm_src 0
		.amdhsa_exception_fp_ieee_div_zero 0
		.amdhsa_exception_fp_ieee_overflow 0
		.amdhsa_exception_fp_ieee_underflow 0
		.amdhsa_exception_fp_ieee_inexact 0
		.amdhsa_exception_int_div_zero 0
	.end_amdhsa_kernel
	.text
.Lfunc_end1:
	.size	_Z10compactLv1fPKfPjS1_, .Lfunc_end1-_Z10compactLv1fPKfPjS1_
                                        ; -- End function
	.set _Z10compactLv1fPKfPjS1_.num_vgpr, 9
	.set _Z10compactLv1fPKfPjS1_.num_agpr, 0
	.set _Z10compactLv1fPKfPjS1_.numbered_sgpr, 11
	.set _Z10compactLv1fPKfPjS1_.num_named_barrier, 0
	.set _Z10compactLv1fPKfPjS1_.private_seg_size, 0
	.set _Z10compactLv1fPKfPjS1_.uses_vcc, 1
	.set _Z10compactLv1fPKfPjS1_.uses_flat_scratch, 0
	.set _Z10compactLv1fPKfPjS1_.has_dyn_sized_stack, 0
	.set _Z10compactLv1fPKfPjS1_.has_recursion, 0
	.set _Z10compactLv1fPKfPjS1_.has_indirect_call, 0
	.section	.AMDGPU.csdata,"",@progbits
; Kernel info:
; codeLenInByte = 984
; TotalNumSgprs: 13
; NumVgprs: 9
; ScratchSize: 0
; MemoryBound: 0
; FloatMode: 240
; IeeeMode: 1
; LDSByteSize: 128 bytes/workgroup (compile time only)
; SGPRBlocks: 0
; VGPRBlocks: 0
; NumSGPRsForWavesPerEU: 13
; NumVGPRsForWavesPerEU: 9
; NamedBarCnt: 0
; Occupancy: 16
; WaveLimiterHint : 0
; COMPUTE_PGM_RSRC2:SCRATCH_EN: 0
; COMPUTE_PGM_RSRC2:USER_SGPR: 2
; COMPUTE_PGM_RSRC2:TRAP_HANDLER: 0
; COMPUTE_PGM_RSRC2:TGID_X_EN: 1
; COMPUTE_PGM_RSRC2:TGID_Y_EN: 0
; COMPUTE_PGM_RSRC2:TGID_Z_EN: 0
; COMPUTE_PGM_RSRC2:TIDIG_COMP_CNT: 0
	.text
	.protected	_Z16computeMinMaxLv2PKjPf ; -- Begin function _Z16computeMinMaxLv2PKjPf
	.globl	_Z16computeMinMaxLv2PKjPf
	.p2align	8
	.type	_Z16computeMinMaxLv2PKjPf,@function
_Z16computeMinMaxLv2PKjPf:              ; @_Z16computeMinMaxLv2PKjPf
; %bb.0:
	s_load_b128 s[0:3], s[0:1], 0x0
	v_bfe_u32 v10, v0, 10, 10
	s_bfe_u32 s4, ttmp6, 0x4000c
	s_and_b32 s5, ttmp6, 15
	s_add_co_i32 s4, s4, 1
	s_getreg_b32 s6, hwreg(HW_REG_IB_STS2, 6, 4)
	s_mul_i32 s4, ttmp9, s4
	v_mul_u32_u24_e32 v1, 0x3334, v10
	s_add_co_i32 s5, s5, s4
	s_cmp_eq_u32 s6, 0
	v_and_b32_e32 v2, 3, v0
	s_cselect_b32 s4, ttmp9, s5
	v_lshrrev_b32_e32 v1, 16, v1
	v_mbcnt_lo_u32_b32 v11, -1, 0
	v_and_b32_e32 v12, 0x3ff, v0
	s_delay_alu instid0(VALU_DEP_3) | instskip(NEXT) | instid1(VALU_DEP_3)
	v_mul_lo_u16 v1, v1, 5
	v_cmp_gt_u32_e32 vcc_lo, 24, v11
	s_wait_kmcnt 0x0
	s_load_b32 s0, s[0:1], s4 offset:0x0 scale_offset
	s_wait_xcnt 0x0
	s_mulk_i32 s4, 0xe1
	v_sub_nc_u16 v1, v10, v1
	v_cndmask_b32_e64 v13, 0, 8, vcc_lo
	v_cmp_gt_u32_e32 vcc_lo, 28, v11
	s_delay_alu instid0(VALU_DEP_3) | instskip(NEXT) | instid1(VALU_DEP_1)
	v_mul_lo_u16 v1, v1, 3
	v_add_nc_u32_e32 v1, v1, v2
	s_delay_alu instid0(VALU_DEP_1) | instskip(SKIP_4) | instid1(SALU_CYCLE_1)
	v_or_b32_e32 v1, 0xfffffe00, v1
	s_wait_kmcnt 0x0
	s_mul_hi_u32 s1, s0, 0xf0f0f0f1
	s_mul_hi_u32 s5, s0, 0xe2c4a689
	s_lshr_b32 s1, s1, 6
	s_mulk_i32 s1, 0x44
	s_delay_alu instid0(SALU_CYCLE_1) | instskip(SKIP_3) | instid1(SALU_CYCLE_1)
	s_sub_co_i32 s0, s0, s1
	s_lshr_b32 s1, s5, 12
	v_mad_u32 v1, s0, 15, v1
	s_mul_i32 s1, s1, 63
	s_add_co_i32 s0, s1, 0xfffffe00
	s_delay_alu instid0(SALU_CYCLE_1) | instskip(NEXT) | instid1(SALU_CYCLE_3)
	s_cvt_f32_i32 s0, s0
	v_mov_b32_e32 v3, s0
	s_mov_b32 s0, 0x3b000000
	s_delay_alu instid0(VALU_DEP_2) | instskip(NEXT) | instid1(VALU_DEP_1)
	v_cvt_f32_i32_e32 v2, v1
	v_pk_mul_f32 v[4:5], v[2:3], s[0:1] op_sel_hi:[1,0]
	v_mov_b32_e32 v2, 0x3b000000
	v_mov_b32_e32 v6, 0x41800000
	s_delay_alu instid0(VALU_DEP_3) | instskip(NEXT) | instid1(VALU_DEP_4)
	v_dual_mov_b32 v8, v3 :: v_dual_mov_b32 v7, v5
	v_dual_mov_b32 v9, v4 :: v_dual_mov_b32 v3, v4
	s_delay_alu instid0(VALU_DEP_1) | instskip(NEXT) | instid1(VALU_DEP_3)
	v_pk_mul_f32 v[0:1], v[8:9], v[2:3]
	v_pk_mul_f32 v[2:3], v[4:5], v[6:7]
	v_cndmask_b32_e64 v3, 0, 4, vcc_lo
	v_cmp_gt_u32_e32 vcc_lo, 30, v11
	s_delay_alu instid0(VALU_DEP_4) | instskip(NEXT) | instid1(VALU_DEP_3)
	v_pk_fma_f32 v[8:9], v[4:5], v[6:7], v[0:1]
	v_add_lshl_u32 v3, v3, v11, 2
	v_cndmask_b32_e64 v14, 0, 2, vcc_lo
	v_cmp_ne_u32_e32 vcc_lo, 31, v11
	s_delay_alu instid0(VALU_DEP_4) | instskip(SKIP_4) | instid1(VALU_DEP_4)
	v_pk_fma_f32 v[8:9], v[4:5], v[6:7], v[8:9]
	v_mul_f32_e32 v15, v2, v0
	v_add_lshl_u32 v0, v13, v11, 2
	v_add_lshl_u32 v4, v14, v11, 2
	v_add_co_ci_u32_e64 v16, null, 0, v11, vcc_lo
	v_fma_f32 v7, -v5, v15, 1.0
	v_add_lshl_u32 v6, s4, v10, 1
	s_mov_b32 s4, 0
	s_delay_alu instid0(VALU_DEP_3)
	v_lshlrev_b32_e32 v5, 2, v16
	v_cmp_eq_u32_e32 vcc_lo, 0, v12
	v_fmac_f32_e32 v7, -4.0, v9
	s_branch .LBB2_2
.LBB2_1:                                ;   in Loop: Header=BB2_2 Depth=1
	s_wait_xcnt 0x0
	s_or_b32 exec_lo, exec_lo, s5
	s_add_co_i32 s4, s4, 7
	s_delay_alu instid0(SALU_CYCLE_1)
	s_cmp_eq_u32 s4, 63
	s_cbranch_scc1 .LBB2_4
.LBB2_2:                                ; =>This Inner Loop Header: Depth=1
	s_add_co_i32 s5, s1, s4
	s_delay_alu instid0(SALU_CYCLE_1)
	s_add_co_i32 s0, s5, 0xfffffe01
	s_add_co_i32 s6, s5, 0xfffffe02
	s_cvt_f32_i32 s0, s0
	s_cvt_f32_i32 s6, s6
	s_add_co_i32 s7, s5, 0xfffffe03
	s_add_co_i32 s8, s5, 0xfffffe04
	s_mul_f32 s0, s0, 0x3b000000
	s_mul_f32 s6, s6, 0x3b000000
	s_cvt_f32_i32 s7, s7
	s_wait_dscnt 0x0
	s_delay_alu instid0(SALU_CYCLE_1) | instskip(SKIP_3) | instid1(VALU_DEP_3)
	v_dual_mul_f32 v8, s0, v2 :: v_dual_mul_f32 v10, s6, v2
	v_fma_f32 v9, s0, s0, v1
	v_fma_f32 v11, s6, s6, v1
	s_mul_f32 s7, s7, 0x3b000000
	v_fma_f32 v8, -s0, v8, 1.0
	v_fma_f32 v10, -s6, v10, 1.0
	v_fmac_f32_e64 v9, s0, s0
	s_cvt_f32_i32 s0, s8
	v_fmac_f32_e64 v11, s6, s6
	v_fma_f32 v12, s7, s7, v1
	s_delay_alu instid0(VALU_DEP_3) | instskip(SKIP_1) | instid1(VALU_DEP_2)
	v_dual_fmac_f32 v8, -4.0, v9 :: v_dual_mul_f32 v9, s7, v2
	s_mul_f32 s6, s0, 0x3b000000
	v_fmac_f32_e64 v12, s7, s7
	s_delay_alu instid0(VALU_DEP_2) | instskip(SKIP_2) | instid1(VALU_DEP_3)
	v_cmp_lt_f32_e64 s0, v8, v7
	v_fmac_f32_e32 v10, -4.0, v11
	v_fma_f32 v9, -s7, v9, 1.0
	v_cndmask_b32_e64 v11, v7, v8, s0
	v_cmp_gt_f32_e64 s0, v8, v7
	s_delay_alu instid0(VALU_DEP_3) | instskip(NEXT) | instid1(VALU_DEP_2)
	v_fmac_f32_e32 v9, -4.0, v12
	v_cndmask_b32_e64 v7, v7, v8, s0
	s_delay_alu instid0(VALU_DEP_4) | instskip(NEXT) | instid1(VALU_DEP_1)
	v_cmp_lt_f32_e64 s0, v10, v11
	v_cndmask_b32_e64 v8, v11, v10, s0
	v_mul_f32_e32 v11, s6, v2
	s_delay_alu instid0(VALU_DEP_4) | instskip(NEXT) | instid1(VALU_DEP_2)
	v_cmp_gt_f32_e64 s0, v10, v7
	v_fma_f32 v11, -s6, v11, 1.0
	s_delay_alu instid0(VALU_DEP_2) | instskip(SKIP_4) | instid1(VALU_DEP_2)
	v_cndmask_b32_e64 v7, v7, v10, s0
	s_add_co_i32 s0, s5, 0xfffffe05
	v_fma_f32 v10, s6, s6, v1
	s_cvt_f32_i32 s7, s0
	v_cmp_lt_f32_e64 s0, v9, v8
	v_fmac_f32_e64 v10, s6, s6
	s_delay_alu instid0(SALU_CYCLE_1) | instskip(SKIP_2) | instid1(VALU_DEP_3)
	s_mul_f32 s6, s7, 0x3b000000
	v_cndmask_b32_e64 v8, v8, v9, s0
	v_cmp_gt_f32_e64 s0, v9, v7
	v_fmac_f32_e32 v11, -4.0, v10
	v_fma_f32 v10, s6, s6, v1
	s_delay_alu instid0(VALU_DEP_3)
	v_cndmask_b32_e64 v7, v7, v9, s0
	s_add_co_i32 s0, s5, 0xfffffe06
	s_addk_co_i32 s5, 0xfe07
	s_cvt_f32_i32 s7, s0
	v_cmp_lt_f32_e64 s0, v11, v8
	v_mul_f32_e32 v9, s6, v2
	v_fmac_f32_e64 v10, s6, s6
	s_mul_f32 s7, s7, 0x3b000000
	s_cvt_f32_i32 s5, s5
	v_cndmask_b32_e64 v8, v8, v11, s0
	v_fma_f32 v9, -s6, v9, 1.0
	v_fma_f32 v13, s7, s7, v1
	v_cmp_gt_f32_e64 s0, v11, v7
	v_mul_f32_e32 v12, s7, v2
	s_mul_f32 s5, s5, 0x3b000000
	v_fmac_f32_e64 v13, s7, s7
	v_dual_cndmask_b32 v11, v7, v11, s0 :: v_dual_fmac_f32 v9, -4.0, v10
	s_delay_alu instid0(VALU_DEP_3) | instskip(SKIP_1) | instid1(VALU_DEP_2)
	v_fma_f32 v10, -s7, v12, 1.0
	v_fma_f32 v12, s5, s5, v1
	v_fmac_f32_e32 v10, -4.0, v13
	s_delay_alu instid0(VALU_DEP_4) | instskip(SKIP_1) | instid1(VALU_DEP_4)
	v_cmp_lt_f32_e64 s0, v9, v8
	v_mul_f32_e32 v7, s5, v2
	v_fmac_f32_e64 v12, s5, s5
	s_delay_alu instid0(VALU_DEP_3) | instskip(SKIP_1) | instid1(VALU_DEP_4)
	v_cndmask_b32_e64 v8, v8, v9, s0
	v_cmp_gt_f32_e64 s0, v9, v11
	v_fma_f32 v7, -s5, v7, 1.0
	s_delay_alu instid0(VALU_DEP_2) | instskip(NEXT) | instid1(VALU_DEP_4)
	v_cndmask_b32_e64 v9, v11, v9, s0
	v_cmp_lt_f32_e64 s0, v10, v8
	s_delay_alu instid0(VALU_DEP_1) | instskip(NEXT) | instid1(VALU_DEP_3)
	v_cndmask_b32_e64 v8, v8, v10, s0
	v_cmp_gt_f32_e64 s0, v10, v9
	s_delay_alu instid0(VALU_DEP_1) | instskip(NEXT) | instid1(VALU_DEP_1)
	v_dual_fmac_f32 v7, -4.0, v12 :: v_dual_cndmask_b32 v9, v9, v10, s0
	v_cmp_lt_f32_e64 s0, v7, v8
	s_delay_alu instid0(VALU_DEP_1) | instskip(NEXT) | instid1(VALU_DEP_3)
	v_cndmask_b32_e64 v8, v8, v7, s0
	v_cmp_gt_f32_e64 s0, v7, v9
	s_delay_alu instid0(VALU_DEP_1) | instskip(SKIP_4) | instid1(VALU_DEP_1)
	v_cndmask_b32_e64 v9, v9, v7, s0
	ds_bpermute_b32 v10, v0, v8
	ds_bpermute_b32 v11, v0, v9
	s_wait_dscnt 0x1
	v_cmp_gt_f32_e64 s0, v8, v10
	v_cndmask_b32_e64 v8, v8, v10, s0
	s_wait_dscnt 0x0
	v_cmp_lt_f32_e64 s0, v9, v11
	s_delay_alu instid0(VALU_DEP_1) | instskip(SKIP_4) | instid1(VALU_DEP_1)
	v_cndmask_b32_e64 v9, v9, v11, s0
	ds_bpermute_b32 v10, v3, v8
	ds_bpermute_b32 v11, v3, v9
	s_wait_dscnt 0x1
	v_cmp_gt_f32_e64 s0, v8, v10
	v_cndmask_b32_e64 v8, v8, v10, s0
	s_wait_dscnt 0x0
	v_cmp_lt_f32_e64 s0, v9, v11
	s_delay_alu instid0(VALU_DEP_1) | instskip(SKIP_4) | instid1(VALU_DEP_1)
	v_cndmask_b32_e64 v10, v9, v11, s0
	ds_bpermute_b32 v9, v4, v8
	ds_bpermute_b32 v11, v4, v10
	s_wait_dscnt 0x1
	v_cmp_gt_f32_e64 s0, v8, v9
	v_cndmask_b32_e64 v9, v8, v9, s0
	s_wait_dscnt 0x0
	v_cmp_lt_f32_e64 s0, v10, v11
	s_delay_alu instid0(VALU_DEP_1)
	v_cndmask_b32_e64 v8, v10, v11, s0
	ds_bpermute_b32 v11, v5, v9
	ds_bpermute_b32 v10, v5, v8
	s_and_saveexec_b32 s5, vcc_lo
	s_cbranch_execz .LBB2_1
; %bb.3:                                ;   in Loop: Header=BB2_2 Depth=1
	s_wait_dscnt 0x1
	v_cmp_gt_f32_e64 s0, v9, v11
	s_delay_alu instid0(VALU_DEP_1) | instskip(SKIP_2) | instid1(VALU_DEP_1)
	v_dual_cndmask_b32 v9, v9, v11, s0 :: v_dual_add_nc_u32 v11, 50, v6
	s_wait_dscnt 0x0
	v_cmp_lt_f32_e64 s0, v8, v10
	v_cndmask_b32_e64 v8, v8, v10, s0
	v_add_nc_u32_e32 v10, 1, v6
	global_store_b32 v6, v9, s[2:3] scale_offset
	s_wait_xcnt 0x0
	v_mov_b32_e32 v6, v11
	global_store_b32 v10, v8, s[2:3] scale_offset
	s_branch .LBB2_1
.LBB2_4:
	s_endpgm
	.section	.rodata,"a",@progbits
	.p2align	6, 0x0
	.amdhsa_kernel _Z16computeMinMaxLv2PKjPf
		.amdhsa_group_segment_fixed_size 0
		.amdhsa_private_segment_fixed_size 0
		.amdhsa_kernarg_size 16
		.amdhsa_user_sgpr_count 2
		.amdhsa_user_sgpr_dispatch_ptr 0
		.amdhsa_user_sgpr_queue_ptr 0
		.amdhsa_user_sgpr_kernarg_segment_ptr 1
		.amdhsa_user_sgpr_dispatch_id 0
		.amdhsa_user_sgpr_kernarg_preload_length 0
		.amdhsa_user_sgpr_kernarg_preload_offset 0
		.amdhsa_user_sgpr_private_segment_size 0
		.amdhsa_wavefront_size32 1
		.amdhsa_uses_dynamic_stack 0
		.amdhsa_enable_private_segment 0
		.amdhsa_system_sgpr_workgroup_id_x 1
		.amdhsa_system_sgpr_workgroup_id_y 0
		.amdhsa_system_sgpr_workgroup_id_z 0
		.amdhsa_system_sgpr_workgroup_info 0
		.amdhsa_system_vgpr_workitem_id 1
		.amdhsa_next_free_vgpr 17
		.amdhsa_next_free_sgpr 9
		.amdhsa_named_barrier_count 0
		.amdhsa_reserve_vcc 1
		.amdhsa_float_round_mode_32 0
		.amdhsa_float_round_mode_16_64 0
		.amdhsa_float_denorm_mode_32 3
		.amdhsa_float_denorm_mode_16_64 3
		.amdhsa_fp16_overflow 0
		.amdhsa_memory_ordered 1
		.amdhsa_forward_progress 1
		.amdhsa_inst_pref_size 12
		.amdhsa_round_robin_scheduling 0
		.amdhsa_exception_fp_ieee_invalid_op 0
		.amdhsa_exception_fp_denorm_src 0
		.amdhsa_exception_fp_ieee_div_zero 0
		.amdhsa_exception_fp_ieee_overflow 0
		.amdhsa_exception_fp_ieee_underflow 0
		.amdhsa_exception_fp_ieee_inexact 0
		.amdhsa_exception_int_div_zero 0
	.end_amdhsa_kernel
	.text
.Lfunc_end2:
	.size	_Z16computeMinMaxLv2PKjPf, .Lfunc_end2-_Z16computeMinMaxLv2PKjPf
                                        ; -- End function
	.set _Z16computeMinMaxLv2PKjPf.num_vgpr, 17
	.set _Z16computeMinMaxLv2PKjPf.num_agpr, 0
	.set _Z16computeMinMaxLv2PKjPf.numbered_sgpr, 9
	.set _Z16computeMinMaxLv2PKjPf.num_named_barrier, 0
	.set _Z16computeMinMaxLv2PKjPf.private_seg_size, 0
	.set _Z16computeMinMaxLv2PKjPf.uses_vcc, 1
	.set _Z16computeMinMaxLv2PKjPf.uses_flat_scratch, 0
	.set _Z16computeMinMaxLv2PKjPf.has_dyn_sized_stack, 0
	.set _Z16computeMinMaxLv2PKjPf.has_recursion, 0
	.set _Z16computeMinMaxLv2PKjPf.has_indirect_call, 0
	.section	.AMDGPU.csdata,"",@progbits
; Kernel info:
; codeLenInByte = 1436
; TotalNumSgprs: 11
; NumVgprs: 17
; ScratchSize: 0
; MemoryBound: 0
; FloatMode: 240
; IeeeMode: 1
; LDSByteSize: 0 bytes/workgroup (compile time only)
; SGPRBlocks: 0
; VGPRBlocks: 1
; NumSGPRsForWavesPerEU: 11
; NumVGPRsForWavesPerEU: 17
; NamedBarCnt: 0
; Occupancy: 16
; WaveLimiterHint : 0
; COMPUTE_PGM_RSRC2:SCRATCH_EN: 0
; COMPUTE_PGM_RSRC2:USER_SGPR: 2
; COMPUTE_PGM_RSRC2:TRAP_HANDLER: 0
; COMPUTE_PGM_RSRC2:TGID_X_EN: 1
; COMPUTE_PGM_RSRC2:TGID_Y_EN: 0
; COMPUTE_PGM_RSRC2:TGID_Z_EN: 0
; COMPUTE_PGM_RSRC2:TIDIG_COMP_CNT: 1
	.text
	.protected	_Z10compactLv2fPKfPKjPjjS3_ ; -- Begin function _Z10compactLv2fPKfPKjPjjS3_
	.globl	_Z10compactLv2fPKfPKjPjjS3_
	.p2align	8
	.type	_Z10compactLv2fPKfPKjPjjS3_,@function
_Z10compactLv2fPKfPKjPjjS3_:            ; @_Z10compactLv2fPKfPKjPjjS3_
; %bb.0:
	s_bfe_u32 s2, ttmp6, 0x4000c
	s_and_b32 s3, ttmp6, 15
	s_add_co_i32 s2, s2, 1
	s_getreg_b32 s4, hwreg(HW_REG_IB_STS2, 6, 4)
	s_mul_i32 s2, ttmp9, s2
	s_mov_b32 s8, -1
	s_add_co_i32 s3, s3, s2
	s_cmp_eq_u32 s4, 0
	s_mov_b32 s4, exec_lo
	s_cselect_b32 s2, ttmp9, s3
	s_delay_alu instid0(SALU_CYCLE_1) | instskip(SKIP_1) | instid1(VALU_DEP_1)
	v_lshl_or_b32 v1, s2, 10, v0
	s_load_b32 s2, s[0:1], 0x20
	v_mul_hi_u32 v2, 0x91a2b3c5, v1
	s_delay_alu instid0(VALU_DEP_1) | instskip(SKIP_1) | instid1(VALU_DEP_1)
	v_dual_lshrrev_b32 v4, 7, v2 :: v_dual_mov_b32 v2, 0
	s_wait_kmcnt 0x0
	v_cmpx_gt_u32_e64 s2, v4
	s_cbranch_execz .LBB3_6
; %bb.1:
	s_clause 0x1
	s_load_b64 s[2:3], s[0:1], 0x8
	s_load_b32 s7, s[0:1], 0x0
	v_lshlrev_b32_e32 v2, 1, v1
	s_mov_b32 s6, exec_lo
	s_wait_kmcnt 0x0
	global_load_b32 v3, v2, s[2:3] scale_offset
	s_wait_loadcnt 0x0
	v_cmp_nge_f32_e64 s5, s7, v3
	v_cmpx_ge_f32_e32 s7, v3
	s_cbranch_execz .LBB3_3
; %bb.2:
	v_mov_b32_e32 v3, 0
	s_delay_alu instid0(VALU_DEP_1)
	v_lshl_add_u64 v[2:3], v[2:3], 2, s[2:3]
	s_and_not1_b32 s2, s5, exec_lo
	global_load_b32 v2, v[2:3], off offset:4
	s_wait_loadcnt 0x0
	v_cmp_nle_f32_e32 vcc_lo, s7, v2
	s_and_b32 s3, vcc_lo, exec_lo
	s_delay_alu instid0(SALU_CYCLE_1)
	s_or_b32 s5, s2, s3
.LBB3_3:
	s_or_b32 exec_lo, exec_lo, s6
	v_mov_b32_e32 v2, 1
	s_mov_b32 s2, 0
	s_and_saveexec_b32 s3, s5
; %bb.4:
	v_mov_b32_e32 v2, 0
	s_mov_b32 s2, exec_lo
; %bb.5:
	s_or_b32 exec_lo, exec_lo, s3
	s_delay_alu instid0(SALU_CYCLE_1)
	s_or_not1_b32 s8, s2, exec_lo
.LBB3_6:
	s_or_b32 exec_lo, exec_lo, s4
	v_mbcnt_lo_u32_b32 v8, -1, 0
	s_mov_b32 s7, exec_lo
	v_and_b32_e32 v5, 31, v0
	s_delay_alu instid0(VALU_DEP_2) | instskip(NEXT) | instid1(VALU_DEP_2)
	v_dual_add_nc_u32 v3, -1, v8 :: v_dual_add_nc_u32 v7, -2, v8
	v_cmp_gt_u32_e64 s5, 16, v5
	s_delay_alu instid0(VALU_DEP_2) | instskip(SKIP_1) | instid1(VALU_DEP_4)
	v_cmp_gt_i32_e32 vcc_lo, 0, v3
	v_cndmask_b32_e32 v3, v3, v8, vcc_lo
	v_cmp_gt_i32_e32 vcc_lo, 0, v7
	s_delay_alu instid0(VALU_DEP_2) | instskip(SKIP_4) | instid1(VALU_DEP_1)
	v_dual_lshlrev_b32 v3, 2, v3 :: v_dual_cndmask_b32 v7, v7, v8, vcc_lo
	v_cmp_eq_u32_e32 vcc_lo, 0, v5
	ds_bpermute_b32 v6, v3, v2
	s_wait_dscnt 0x0
	v_cndmask_b32_e64 v9, v6, 0, vcc_lo
	v_dual_add_nc_u32 v2, v9, v2 :: v_dual_lshlrev_b32 v6, 2, v7
	v_add_nc_u32_e32 v9, -4, v8
	ds_bpermute_b32 v7, v6, v2
	v_cmp_gt_i32_e64 s2, 0, v9
	s_delay_alu instid0(VALU_DEP_1) | instskip(SKIP_2) | instid1(VALU_DEP_1)
	v_cndmask_b32_e64 v9, v9, v8, s2
	v_cmp_gt_u32_e64 s2, 2, v5
	s_wait_dscnt 0x0
	v_cndmask_b32_e64 v10, v7, 0, s2
	s_delay_alu instid0(VALU_DEP_1) | instskip(NEXT) | instid1(VALU_DEP_1)
	v_dual_add_nc_u32 v2, v10, v2 :: v_dual_add_nc_u32 v10, -8, v8
	v_cmp_gt_i32_e64 s3, 0, v10
	s_delay_alu instid0(VALU_DEP_1) | instskip(SKIP_3) | instid1(VALU_DEP_1)
	v_dual_lshlrev_b32 v7, 2, v9 :: v_dual_cndmask_b32 v10, v10, v8, s3
	ds_bpermute_b32 v9, v7, v2
	v_cmp_gt_u32_e64 s3, 4, v5
	s_wait_dscnt 0x0
	v_cndmask_b32_e64 v11, v9, 0, s3
	v_lshlrev_b32_e32 v9, 2, v10
	s_delay_alu instid0(VALU_DEP_2) | instskip(NEXT) | instid1(VALU_DEP_1)
	v_dual_add_nc_u32 v2, v11, v2 :: v_dual_add_nc_u32 v11, -16, v8
	v_cmp_gt_i32_e64 s4, 0, v11
	s_delay_alu instid0(VALU_DEP_1) | instskip(SKIP_3) | instid1(VALU_DEP_1)
	v_cndmask_b32_e64 v8, v11, v8, s4
	ds_bpermute_b32 v10, v9, v2
	v_cmp_gt_u32_e64 s4, 8, v5
	s_wait_dscnt 0x0
	v_cndmask_b32_e64 v11, v10, 0, s4
	s_delay_alu instid0(VALU_DEP_1) | instskip(SKIP_3) | instid1(VALU_DEP_1)
	v_dual_lshlrev_b32 v10, 2, v8 :: v_dual_add_nc_u32 v2, v11, v2
	ds_bpermute_b32 v8, v10, v2
	s_wait_dscnt 0x0
	v_cndmask_b32_e64 v11, v8, 0, s5
	v_dual_lshrrev_b32 v8, 5, v0 :: v_dual_add_nc_u32 v2, v11, v2
	v_cmpx_eq_u32_e32 31, v5
; %bb.7:
	s_delay_alu instid0(VALU_DEP_2)
	v_lshlrev_b32_e32 v11, 2, v8
	ds_store_b32 v11, v2
; %bb.8:
	s_or_b32 exec_lo, exec_lo, s7
	v_cmp_lt_u32_e64 s6, 31, v0
	s_mov_b32 s9, exec_lo
	s_wait_dscnt 0x0
	s_barrier_signal -1
	s_barrier_wait -1
	v_cmpx_gt_u32_e32 32, v0
	s_cbranch_execz .LBB3_10
; %bb.9:
	v_lshlrev_b32_e32 v5, 2, v5
	ds_load_b32 v11, v5
	s_wait_dscnt 0x0
	ds_bpermute_b32 v3, v3, v11
	s_wait_dscnt 0x0
	v_cndmask_b32_e64 v3, v3, 0, vcc_lo
	s_delay_alu instid0(VALU_DEP_1) | instskip(SKIP_3) | instid1(VALU_DEP_1)
	v_add_nc_u32_e32 v3, v3, v11
	ds_bpermute_b32 v6, v6, v3
	s_wait_dscnt 0x0
	v_cndmask_b32_e64 v6, v6, 0, s2
	v_add_nc_u32_e32 v3, v6, v3
	ds_bpermute_b32 v6, v7, v3
	s_wait_dscnt 0x0
	v_cndmask_b32_e64 v6, v6, 0, s3
	s_delay_alu instid0(VALU_DEP_1) | instskip(SKIP_3) | instid1(VALU_DEP_1)
	v_add_nc_u32_e32 v3, v6, v3
	ds_bpermute_b32 v6, v9, v3
	s_wait_dscnt 0x0
	v_cndmask_b32_e64 v6, v6, 0, s4
	v_add_nc_u32_e32 v3, v6, v3
	ds_bpermute_b32 v6, v10, v3
	s_wait_dscnt 0x0
	v_cndmask_b32_e64 v6, v6, 0, s5
	s_delay_alu instid0(VALU_DEP_1)
	v_add_nc_u32_e32 v3, v6, v3
	ds_store_b32 v5, v3
.LBB3_10:
	s_or_b32 exec_lo, exec_lo, s9
	s_wait_dscnt 0x0
	s_barrier_signal -1
	s_barrier_wait -1
	s_and_saveexec_b32 s2, s6
	s_cbranch_execz .LBB3_12
; %bb.11:
	v_lshl_add_u32 v3, v8, 2, -4
	ds_load_b32 v3, v3
	s_wait_dscnt 0x0
	v_add_nc_u32_e32 v2, v3, v2
.LBB3_12:
	s_or_b32 exec_lo, exec_lo, s2
	s_load_b128 s[4:7], s[0:1], 0x10
	s_mov_b32 s2, exec_lo
	v_cmpx_eq_u32_e32 0x3ff, v0
	s_cbranch_execz .LBB3_18
; %bb.13:
	s_wait_xcnt 0x0
	s_load_b64 s[0:1], s[0:1], 0x28
	s_mov_b32 s9, exec_lo
	s_mov_b32 s3, 0
                                        ; implicit-def: $vgpr0
.LBB3_14:                               ; =>This Inner Loop Header: Depth=1
	s_ctz_i32_b32 s10, s9
	s_delay_alu instid0(SALU_CYCLE_1)
	v_readlane_b32 s11, v2, s10
	s_lshl_b32 s12, 1, s10
	v_writelane_b32 v0, s3, s10
	s_and_not1_b32 s9, s9, s12
	s_add_co_i32 s3, s3, s11
	s_cmp_lg_u32 s9, 0
	s_cbranch_scc1 .LBB3_14
; %bb.15:
	v_mbcnt_lo_u32_b32 v3, exec_lo, 0
	s_delay_alu instid0(VALU_DEP_1) | instskip(SKIP_1) | instid1(SALU_CYCLE_1)
	v_cmp_eq_u32_e32 vcc_lo, 0, v3
                                        ; implicit-def: $vgpr3
	s_and_saveexec_b32 s9, vcc_lo
	s_xor_b32 s9, exec_lo, s9
	s_cbranch_execz .LBB3_17
; %bb.16:
	v_dual_mov_b32 v3, 0 :: v_dual_mov_b32 v5, s3
	s_wait_xcnt 0x0
	s_wait_kmcnt 0x0
	global_atomic_add_u32 v3, v3, v5, s[0:1] th:TH_ATOMIC_RETURN scope:SCOPE_DEV
.LBB3_17:
	s_wait_xcnt 0x0
	s_or_b32 exec_lo, exec_lo, s9
	s_wait_loadcnt 0x0
	s_wait_kmcnt 0x0
	v_readfirstlane_b32 s0, v3
	s_delay_alu instid0(VALU_DEP_1)
	v_dual_mov_b32 v3, 0 :: v_dual_add_nc_u32 v0, s0, v0
	ds_store_b32 v3, v0 offset:124
.LBB3_18:
	s_or_b32 exec_lo, exec_lo, s2
	s_wait_xcnt 0x0
	s_xor_b32 s0, s8, -1
	s_wait_dscnt 0x0
	s_barrier_signal -1
	s_barrier_wait -1
	s_and_saveexec_b32 s1, s0
	s_cbranch_execz .LBB3_20
; %bb.19:
	s_wait_kmcnt 0x0
	global_load_b32 v0, v4, s[4:5] scale_offset
	v_mul_lo_u32 v3, 0xe1, v4
	s_wait_loadcnt 0x0
	v_mul_hi_u32 v4, 0xf0f0f0f1, v0
	s_delay_alu instid0(VALU_DEP_2) | instskip(SKIP_1) | instid1(VALU_DEP_3)
	v_sub_nc_u32_e32 v1, v1, v3
	v_mul_hi_u32 v7, 0xe2c4a689, v0
	v_lshrrev_b32_e32 v4, 6, v4
	s_delay_alu instid0(VALU_DEP_3) | instskip(SKIP_1) | instid1(VALU_DEP_3)
	v_and_b32_e32 v3, 0xff, v1
	v_mul_lo_u16 v5, v1, 41
	v_mul_hi_u32 v6, 0x3c3c3c4, v4
	s_delay_alu instid0(VALU_DEP_3) | instskip(NEXT) | instid1(VALU_DEP_3)
	v_mul_lo_u16 v3, 0xcd, v3
	v_lshrrev_b16 v5, 10, v5
	s_delay_alu instid0(VALU_DEP_2) | instskip(NEXT) | instid1(VALU_DEP_2)
	v_lshrrev_b16 v3, 10, v3
	v_and_b32_e32 v5, 0xffff, v5
	s_delay_alu instid0(VALU_DEP_2) | instskip(SKIP_2) | instid1(VALU_DEP_3)
	v_mul_lo_u16 v8, v3, 52
	v_mul_u32_u24_e32 v6, 0x44, v6
	v_lshrrev_b32_e32 v7, 12, v7
	v_lshrrev_b16 v8, 8, v8
	s_delay_alu instid0(VALU_DEP_3) | instskip(NEXT) | instid1(VALU_DEP_3)
	v_sub_nc_u32_e32 v6, v4, v6
	v_mad_u32_u24 v5, v7, 9, v5
	v_mul_lo_u32 v4, 0x44, v4
	s_delay_alu instid0(VALU_DEP_4) | instskip(NEXT) | instid1(VALU_DEP_3)
	v_mul_lo_u16 v7, v8, 5
	v_mad_u32 v5, 0x44, v5, v6
	s_delay_alu instid0(VALU_DEP_2) | instskip(SKIP_2) | instid1(VALU_DEP_3)
	v_sub_nc_u16 v6, v3, v7
	v_mul_lo_u16 v3, v3, 5
	v_sub_nc_u32_e32 v0, v0, v4
	v_and_b32_e32 v6, 0xff, v6
	s_delay_alu instid0(VALU_DEP_3) | instskip(NEXT) | instid1(VALU_DEP_2)
	v_sub_nc_u16 v1, v1, v3
	v_mad_u32 v5, v5, 5, v6
	v_mov_b32_e32 v6, 0
	s_delay_alu instid0(VALU_DEP_3) | instskip(SKIP_2) | instid1(VALU_DEP_1)
	v_and_b32_e32 v1, 0xff, v1
	ds_load_b32 v4, v6 offset:124
	v_mad_u32 v0, 0x44, v5, v0
	v_mad_u32 v0, v0, 5, v1
	s_wait_dscnt 0x0
	v_add3_u32 v1, v2, v4, -1
	global_store_b32 v1, v0, s[6:7] scale_offset
.LBB3_20:
	s_endpgm
	.section	.rodata,"a",@progbits
	.p2align	6, 0x0
	.amdhsa_kernel _Z10compactLv2fPKfPKjPjjS3_
		.amdhsa_group_segment_fixed_size 128
		.amdhsa_private_segment_fixed_size 0
		.amdhsa_kernarg_size 48
		.amdhsa_user_sgpr_count 2
		.amdhsa_user_sgpr_dispatch_ptr 0
		.amdhsa_user_sgpr_queue_ptr 0
		.amdhsa_user_sgpr_kernarg_segment_ptr 1
		.amdhsa_user_sgpr_dispatch_id 0
		.amdhsa_user_sgpr_kernarg_preload_length 0
		.amdhsa_user_sgpr_kernarg_preload_offset 0
		.amdhsa_user_sgpr_private_segment_size 0
		.amdhsa_wavefront_size32 1
		.amdhsa_uses_dynamic_stack 0
		.amdhsa_enable_private_segment 0
		.amdhsa_system_sgpr_workgroup_id_x 1
		.amdhsa_system_sgpr_workgroup_id_y 0
		.amdhsa_system_sgpr_workgroup_id_z 0
		.amdhsa_system_sgpr_workgroup_info 0
		.amdhsa_system_vgpr_workitem_id 0
		.amdhsa_next_free_vgpr 12
		.amdhsa_next_free_sgpr 13
		.amdhsa_named_barrier_count 0
		.amdhsa_reserve_vcc 1
		.amdhsa_float_round_mode_32 0
		.amdhsa_float_round_mode_16_64 0
		.amdhsa_float_denorm_mode_32 3
		.amdhsa_float_denorm_mode_16_64 3
		.amdhsa_fp16_overflow 0
		.amdhsa_memory_ordered 1
		.amdhsa_forward_progress 1
		.amdhsa_inst_pref_size 12
		.amdhsa_round_robin_scheduling 0
		.amdhsa_exception_fp_ieee_invalid_op 0
		.amdhsa_exception_fp_denorm_src 0
		.amdhsa_exception_fp_ieee_div_zero 0
		.amdhsa_exception_fp_ieee_overflow 0
		.amdhsa_exception_fp_ieee_underflow 0
		.amdhsa_exception_fp_ieee_inexact 0
		.amdhsa_exception_int_div_zero 0
	.end_amdhsa_kernel
	.text
.Lfunc_end3:
	.size	_Z10compactLv2fPKfPKjPjjS3_, .Lfunc_end3-_Z10compactLv2fPKfPKjPjjS3_
                                        ; -- End function
	.set _Z10compactLv2fPKfPKjPjjS3_.num_vgpr, 12
	.set _Z10compactLv2fPKfPKjPjjS3_.num_agpr, 0
	.set _Z10compactLv2fPKfPKjPjjS3_.numbered_sgpr, 13
	.set _Z10compactLv2fPKfPKjPjjS3_.num_named_barrier, 0
	.set _Z10compactLv2fPKfPKjPjjS3_.private_seg_size, 0
	.set _Z10compactLv2fPKfPKjPjjS3_.uses_vcc, 1
	.set _Z10compactLv2fPKfPKjPjjS3_.uses_flat_scratch, 0
	.set _Z10compactLv2fPKfPKjPjjS3_.has_dyn_sized_stack, 0
	.set _Z10compactLv2fPKfPKjPjjS3_.has_recursion, 0
	.set _Z10compactLv2fPKfPKjPjjS3_.has_indirect_call, 0
	.section	.AMDGPU.csdata,"",@progbits
; Kernel info:
; codeLenInByte = 1444
; TotalNumSgprs: 15
; NumVgprs: 12
; ScratchSize: 0
; MemoryBound: 0
; FloatMode: 240
; IeeeMode: 1
; LDSByteSize: 128 bytes/workgroup (compile time only)
; SGPRBlocks: 0
; VGPRBlocks: 0
; NumSGPRsForWavesPerEU: 15
; NumVGPRsForWavesPerEU: 12
; NamedBarCnt: 0
; Occupancy: 16
; WaveLimiterHint : 0
; COMPUTE_PGM_RSRC2:SCRATCH_EN: 0
; COMPUTE_PGM_RSRC2:USER_SGPR: 2
; COMPUTE_PGM_RSRC2:TRAP_HANDLER: 0
; COMPUTE_PGM_RSRC2:TGID_X_EN: 1
; COMPUTE_PGM_RSRC2:TGID_Y_EN: 0
; COMPUTE_PGM_RSRC2:TGID_Z_EN: 0
; COMPUTE_PGM_RSRC2:TIDIG_COMP_CNT: 0
	.text
	.protected	_Z19generatingTrianglesfPKjPKtPKiPK15HIP_vector_typeIhLj4EEPjS9_PyPfSB_SB_SB_ ; -- Begin function _Z19generatingTrianglesfPKjPKtPKiPK15HIP_vector_typeIhLj4EEPjS9_PyPfSB_SB_SB_
	.globl	_Z19generatingTrianglesfPKjPKtPKiPK15HIP_vector_typeIhLj4EEPjS9_PyPfSB_SB_SB_
	.p2align	8
	.type	_Z19generatingTrianglesfPKjPKtPKiPK15HIP_vector_typeIhLj4EEPjS9_PyPfSB_SB_SB_,@function
_Z19generatingTrianglesfPKjPKtPKiPK15HIP_vector_typeIhLj4EEPjS9_PyPfSB_SB_SB_: ; @_Z19generatingTrianglesfPKjPKtPKiPK15HIP_vector_typeIhLj4EEPjS9_PyPfSB_SB_SB_
; %bb.0:
	s_load_b64 s[2:3], s[0:1], 0x8
	s_bfe_u32 s4, ttmp6, 0x4000c
	s_and_b32 s5, ttmp6, 15
	s_add_co_i32 s4, s4, 1
	s_getreg_b32 s6, hwreg(HW_REG_IB_STS2, 6, 4)
	s_mul_i32 s4, ttmp9, s4
	v_bfe_u32 v7, v0, 20, 10
	s_add_co_i32 s5, s5, s4
	s_cmp_eq_u32 s6, 0
	v_and_b32_e32 v6, 0x3ff, v0
	s_cselect_b32 s4, ttmp9, s5
	v_mul_u32_u24_e32 v13, 0x64, v7
	v_mov_b32_e32 v9, 7
	s_delay_alu instid0(VALU_DEP_3) | instskip(SKIP_4) | instid1(SALU_CYCLE_1)
	v_cmp_eq_u32_e32 vcc_lo, 3, v6
	s_wait_kmcnt 0x0
	s_load_b32 s2, s[2:3], s4 offset:0x0 scale_offset
	s_wait_kmcnt 0x0
	s_mul_hi_u32 s3, s2, 0xc0c0c0c1
	s_lshr_b32 s20, s3, 8
	s_mul_hi_u32 s3, s2, 0x9121b243
	s_mul_i32 s4, s20, 0x154
	s_lshr_b32 s3, s3, 16
	s_sub_co_i32 s2, s2, s4
	v_mad_u32 v3, s3, 7, v7
	v_mad_u32 v5, s2, 3, v6
	s_delay_alu instid0(VALU_DEP_2) | instskip(NEXT) | instid1(VALU_DEP_2)
	v_add_nc_u32_e32 v1, 0xfffffe00, v3
	v_add_nc_u32_e32 v2, 0xfffffe00, v5
	s_delay_alu instid0(VALU_DEP_2) | instskip(NEXT) | instid1(VALU_DEP_2)
	v_cvt_f32_i32_e32 v1, v1
	v_cvt_f32_i32_e32 v2, v2
	s_delay_alu instid0(VALU_DEP_2) | instskip(NEXT) | instid1(VALU_DEP_2)
	v_mul_f32_e32 v4, 0x3b000000, v1
	v_mul_f32_e32 v2, 0x3b000000, v2
	v_bfe_u32 v1, v0, 10, 10
	s_delay_alu instid0(VALU_DEP_3) | instskip(NEXT) | instid1(VALU_DEP_2)
	v_mul_f32_e32 v12, v4, v4
	v_mul_u32_u24_e32 v8, 20, v1
	s_delay_alu instid0(VALU_DEP_2) | instskip(SKIP_1) | instid1(VALU_DEP_3)
	v_fma_f32 v10, v2, v2, v12
	v_mul_f32_e32 v11, 0x41800000, v2
	v_mad_u32_u24 v14, 0x64, v7, v8
	s_delay_alu instid0(VALU_DEP_2) | instskip(NEXT) | instid1(VALU_DEP_1)
	v_dual_fmac_f32 v10, v4, v4 :: v_dual_mul_f32 v0, v4, v11
	v_fma_f32 v0, -v4, v0, 1.0
	s_delay_alu instid0(VALU_DEP_1) | instskip(NEXT) | instid1(VALU_DEP_4)
	v_fmac_f32_e32 v0, -4.0, v10
	v_lshl_add_u32 v10, v6, 2, v14
	ds_store_b32 v10, v0
	s_and_saveexec_b32 s3, vcc_lo
	s_cbranch_execz .LBB4_4
; %bb.1:
	v_add_nc_u32_e32 v9, 0xfffffe01, v5
	s_mov_b32 s4, exec_lo
	s_delay_alu instid0(VALU_DEP_1) | instskip(NEXT) | instid1(VALU_DEP_1)
	v_cvt_f32_i32_e32 v9, v9
	v_mul_f32_e32 v9, 0x3b000000, v9
	s_delay_alu instid0(VALU_DEP_1) | instskip(NEXT) | instid1(VALU_DEP_1)
	v_mul_f32_e32 v15, 0xc1800000, v9
	v_dual_fma_f32 v16, v9, v9, v12 :: v_dual_mul_f32 v15, v4, v15
	s_delay_alu instid0(VALU_DEP_1) | instskip(NEXT) | instid1(VALU_DEP_2)
	v_add_f32_e32 v12, v12, v16
	v_fma_f32 v9, v4, v15, 1.0
	s_delay_alu instid0(VALU_DEP_1)
	v_fmac_f32_e32 v9, -4.0, v12
	ds_store_b32 v14, v9 offset:16
	v_cmpx_eq_u32_e32 3, v1
; %bb.2:
	ds_store_b32 v13, v9 offset:96
; %bb.3:
	s_or_b32 exec_lo, exec_lo, s4
	v_mov_b32_e32 v9, 6
.LBB4_4:
	s_or_b32 exec_lo, exec_lo, s3
	v_mul_f32_e32 v12, v2, v2
	s_mov_b32 s3, exec_lo
	v_cmpx_eq_u32_e32 3, v1
	s_cbranch_execz .LBB4_8
; %bb.5:
	v_lshl_add_u32 v13, v6, 2, v13
	s_mov_b32 s4, exec_lo
	ds_store_b32 v13, v0 offset:80
	v_cmpx_eq_u32_e32 7, v7
	s_cbranch_execz .LBB4_7
; %bb.6:
	v_add_nc_u32_e32 v13, 0xfffffe01, v3
	s_delay_alu instid0(VALU_DEP_1) | instskip(NEXT) | instid1(VALU_DEP_1)
	v_cvt_f32_i32_e32 v13, v13
	v_mul_f32_e32 v13, 0x3b000000, v13
	s_delay_alu instid0(VALU_DEP_1) | instskip(NEXT) | instid1(VALU_DEP_1)
	v_dual_mul_f32 v14, v13, v11 :: v_dual_fma_f32 v15, v13, v13, v12
	v_fma_f32 v14, -v13, v14, 1.0
	s_delay_alu instid0(VALU_DEP_2) | instskip(NEXT) | instid1(VALU_DEP_1)
	v_dual_fmac_f32 v15, v13, v13 :: v_dual_lshlrev_b32 v13, 2, v6
	v_fmac_f32_e32 v14, -4.0, v15
	ds_store_b32 v13, v14 offset:880
.LBB4_7:
	s_or_b32 exec_lo, exec_lo, s4
	v_and_b32_e32 v9, 5, v9
.LBB4_8:
	s_or_b32 exec_lo, exec_lo, s3
	s_delay_alu instid0(SALU_CYCLE_1)
	s_mov_b32 s3, exec_lo
	v_cmpx_eq_u32_e32 7, v7
	s_cbranch_execz .LBB4_12
; %bb.9:
	v_add_nc_u32_e32 v13, 0xfffffe01, v3
	v_lshlrev_b32_e32 v14, 2, v6
	s_delay_alu instid0(VALU_DEP_2) | instskip(NEXT) | instid1(VALU_DEP_1)
	v_cvt_f32_i32_e32 v13, v13
	v_mul_f32_e32 v13, 0x3b000000, v13
	s_delay_alu instid0(VALU_DEP_1) | instskip(NEXT) | instid1(VALU_DEP_1)
	v_dual_mul_f32 v11, v13, v11 :: v_dual_fmac_f32 v12, v13, v13
	v_fma_f32 v11, -v13, v11, 1.0
	s_delay_alu instid0(VALU_DEP_2) | instskip(NEXT) | instid1(VALU_DEP_1)
	v_fmac_f32_e32 v12, v13, v13
	v_fmac_f32_e32 v11, -4.0, v12
	v_mad_u32_u24 v12, v1, 20, v14
	ds_store_b32 v12, v11 offset:800
	s_and_saveexec_b32 s2, vcc_lo
	s_cbranch_execz .LBB4_11
; %bb.10:
	v_add_nc_u32_e32 v11, 0xfffffe01, v5
	v_mul_f32_e32 v14, v13, v13
	s_delay_alu instid0(VALU_DEP_2) | instskip(NEXT) | instid1(VALU_DEP_1)
	v_cvt_f32_i32_e32 v11, v11
	v_mul_f32_e32 v11, 0x3b000000, v11
	s_delay_alu instid0(VALU_DEP_1) | instskip(NEXT) | instid1(VALU_DEP_4)
	v_mul_f32_e32 v12, 0xc1800000, v11
	v_fma_f32 v11, v11, v11, v14
	s_delay_alu instid0(VALU_DEP_1) | instskip(NEXT) | instid1(VALU_DEP_1)
	v_dual_add_f32 v11, v14, v11 :: v_dual_mul_f32 v12, v13, v12
	v_fma_f32 v12, v13, v12, 1.0
	s_delay_alu instid0(VALU_DEP_1)
	v_fmac_f32_e32 v12, -4.0, v11
	ds_store_b32 v8, v12 offset:816
.LBB4_11:
	s_or_b32 exec_lo, exec_lo, s2
	v_and_b32_e32 v9, 3, v9
.LBB4_12:
	s_or_b32 exec_lo, exec_lo, s3
	s_load_b32 s21, s[0:1], 0x0
	s_wait_dscnt 0x0
	s_barrier_signal -1
	s_barrier_wait -1
	ds_load_2addr_b32 v[12:13], v10 offset1:1
	ds_load_2addr_b32 v[14:15], v10 offset0:5 offset1:6
	ds_load_2addr_b32 v[16:17], v10 offset0:25 offset1:26
	;; [unrolled: 1-line block ×3, first 2 shown]
	s_mov_b32 s3, exec_lo
	s_wait_dscnt 0x3
	s_wait_kmcnt 0x0
	v_cmp_gt_f32_e32 vcc_lo, s21, v12
	s_wait_dscnt 0x0
	v_cmp_gt_f32_e64 s2, s21, v18
	v_cndmask_b32_e64 v8, 0, 1, vcc_lo
	v_cmp_gt_f32_e32 vcc_lo, s21, v13
	s_delay_alu instid0(VALU_DEP_2) | instskip(NEXT) | instid1(VALU_DEP_1)
	v_or_b32_e32 v11, 2, v8
	v_cndmask_b32_e32 v8, v8, v11, vcc_lo
	v_cmp_gt_f32_e32 vcc_lo, s21, v15
	s_delay_alu instid0(VALU_DEP_2) | instskip(NEXT) | instid1(VALU_DEP_1)
	v_or_b32_e32 v11, 4, v8
	v_cndmask_b32_e32 v8, v8, v11, vcc_lo
	;; [unrolled: 4-line block ×5, first 2 shown]
	v_cmp_gt_f32_e32 vcc_lo, s21, v19
	s_delay_alu instid0(VALU_DEP_2) | instskip(NEXT) | instid1(VALU_DEP_1)
	v_or_b32_e32 v11, 64, v8
	v_dual_cndmask_b32 v8, v8, v11 :: v_dual_mov_b32 v11, 0
	v_cmp_eq_u32_e32 vcc_lo, 0, v9
	s_delay_alu instid0(VALU_DEP_2) | instskip(NEXT) | instid1(VALU_DEP_1)
	v_or_b32_e32 v12, 0x80, v8
	v_cndmask_b32_e64 v8, v8, v12, s2
	v_cmpx_ne_u32_e32 0, v9
	s_cbranch_execz .LBB4_14
; %bb.13:
	s_load_b64 s[4:5], s[0:1], 0x10
	s_wait_kmcnt 0x0
	global_load_u16 v11, v8, s[4:5] scale_offset
	s_wait_loadcnt 0x0
	v_and_b32_e32 v11, 0xffff, v11
.LBB4_14:
	s_or_b32 exec_lo, exec_lo, s3
	v_mbcnt_lo_u32_b32 v13, -1, 0
	s_delay_alu instid0(VALU_DEP_1) | instskip(SKIP_1) | instid1(VALU_DEP_2)
	v_dual_add_nc_u32 v12, -1, v13 :: v_dual_bitop2_b32 v15, 7, v11 bitop3:0x40
	v_add_nc_u32_e32 v22, -4, v13
	v_cmp_gt_i32_e64 s2, 0, v12
	s_delay_alu instid0(VALU_DEP_2) | instskip(NEXT) | instid1(VALU_DEP_2)
	v_cmp_gt_i32_e64 s4, 0, v22
	v_cndmask_b32_e64 v16, v12, v13, s2
	v_cmp_eq_u32_e64 s2, 7, v9
	v_lshlrev_b32_e32 v14, 13, v9
	s_delay_alu instid0(VALU_DEP_2) | instskip(NEXT) | instid1(VALU_DEP_2)
	v_dual_cndmask_b32 v22, v22, v13, s4 :: v_dual_cndmask_b32 v12, 0, v15, s2
	v_dual_lshlrev_b32 v15, 2, v16 :: v_dual_bitop2_b32 v11, v11, v14 bitop3:0x40
	v_dual_lshlrev_b32 v14, 4, v7 :: v_dual_lshlrev_b32 v16, 2, v1
	s_delay_alu instid0(VALU_DEP_3) | instskip(NEXT) | instid1(VALU_DEP_3)
	v_lshlrev_b32_e32 v22, 2, v22
	v_bcnt_u32_b32 v9, v11, 0
	ds_bpermute_b32 v19, v15, v12
	v_add3_u32 v18, v16, v6, v14
	v_add_nc_u32_e32 v14, -2, v13
	ds_bpermute_b32 v20, v15, v9
	v_and_b32_e32 v17, 31, v18
	v_cmp_gt_i32_e64 s3, 0, v14
	s_delay_alu instid0(VALU_DEP_2) | instskip(NEXT) | instid1(VALU_DEP_2)
	v_cmp_eq_u32_e64 s2, 0, v17
	v_cndmask_b32_e64 v14, v14, v13, s3
	v_cmp_gt_u32_e64 s3, 2, v17
	v_cmp_gt_u32_e64 s4, 4, v17
	s_wait_dscnt 0x1
	v_cndmask_b32_e64 v19, v19, 0, s2
	v_lshlrev_b32_e32 v16, 2, v14
	s_wait_dscnt 0x0
	v_cndmask_b32_e64 v20, v20, 0, s2
	s_delay_alu instid0(VALU_DEP_3) | instskip(NEXT) | instid1(VALU_DEP_2)
	v_add_nc_u32_e32 v14, v19, v12
	v_bcnt_u32_b32 v19, v11, v20
	ds_bpermute_b32 v20, v16, v14
	ds_bpermute_b32 v21, v16, v19
	s_wait_dscnt 0x1
	v_cndmask_b32_e64 v20, v20, 0, s3
	s_wait_dscnt 0x0
	v_cndmask_b32_e64 v21, v21, 0, s3
	s_delay_alu instid0(VALU_DEP_1) | instskip(SKIP_3) | instid1(VALU_DEP_1)
	v_dual_add_nc_u32 v14, v20, v14 :: v_dual_add_nc_u32 v19, v21, v19
	ds_bpermute_b32 v20, v22, v14
	ds_bpermute_b32 v21, v22, v19
	v_add_nc_u32_e32 v22, -8, v13
	v_cmp_gt_i32_e64 s5, 0, v22
	s_wait_dscnt 0x1
	v_cndmask_b32_e64 v20, v20, 0, s4
	s_delay_alu instid0(VALU_DEP_2) | instskip(SKIP_2) | instid1(VALU_DEP_3)
	v_cndmask_b32_e64 v22, v22, v13, s5
	s_wait_dscnt 0x0
	v_cndmask_b32_e64 v21, v21, 0, s4
	v_add_nc_u32_e32 v14, v20, v14
	s_delay_alu instid0(VALU_DEP_3) | instskip(SKIP_1) | instid1(VALU_DEP_4)
	v_lshlrev_b32_e32 v22, 2, v22
	v_cmp_gt_u32_e64 s4, 8, v17
	v_add_nc_u32_e32 v19, v21, v19
	ds_bpermute_b32 v20, v22, v14
	ds_bpermute_b32 v21, v22, v19
	v_add_nc_u32_e32 v22, -16, v13
	s_delay_alu instid0(VALU_DEP_1) | instskip(SKIP_2) | instid1(VALU_DEP_2)
	v_cmp_gt_i32_e64 s5, 0, v22
	s_wait_dscnt 0x1
	v_cndmask_b32_e64 v20, v20, 0, s4
	v_cndmask_b32_e64 v13, v22, v13, s5
	s_mov_b32 s5, exec_lo
	s_wait_dscnt 0x0
	v_cndmask_b32_e64 v21, v21, 0, s4
	v_cmp_gt_u32_e64 s4, 16, v17
	v_dual_add_nc_u32 v14, v20, v14 :: v_dual_lshlrev_b32 v13, 2, v13
	s_delay_alu instid0(VALU_DEP_3)
	v_dual_add_nc_u32 v19, v21, v19 :: v_dual_lshrrev_b32 v21, 5, v18
	ds_bpermute_b32 v20, v13, v14
	ds_bpermute_b32 v13, v13, v19
	s_wait_dscnt 0x1
	v_cndmask_b32_e64 v20, v20, 0, s4
	s_wait_dscnt 0x0
	v_cndmask_b32_e64 v13, v13, 0, s4
	s_delay_alu instid0(VALU_DEP_1)
	v_dual_add_nc_u32 v14, v20, v14 :: v_dual_add_nc_u32 v13, v13, v19
	v_lshlrev_b32_e32 v19, 2, v21
	v_cmpx_eq_u32_e32 31, v17
; %bb.15:
	s_delay_alu instid0(VALU_DEP_2)
	v_add_nc_u32_e32 v20, 0x400, v19
	ds_store_2addr_b32 v20, v13, v14 offset0:36 offset1:68
; %bb.16:
	s_or_b32 exec_lo, exec_lo, s5
	v_cmp_lt_u32_e64 s4, 31, v18
	s_mov_b32 s6, exec_lo
	s_wait_dscnt 0x0
	s_barrier_signal -1
	s_barrier_wait -1
	v_cmpx_gt_u32_e32 32, v18
	s_cbranch_execz .LBB4_18
; %bb.17:
	v_lshlrev_b32_e32 v17, 2, v17
	s_delay_alu instid0(VALU_DEP_1)
	v_add_nc_u32_e32 v17, 0x400, v17
	ds_load_2addr_b32 v[20:21], v17 offset0:36 offset1:68
	s_wait_dscnt 0x0
	ds_bpermute_b32 v18, v15, v21
	ds_bpermute_b32 v15, v15, v20
	s_wait_dscnt 0x1
	v_cndmask_b32_e64 v18, v18, 0, s2
	s_wait_dscnt 0x0
	v_cndmask_b32_e64 v15, v15, 0, s2
	s_delay_alu instid0(VALU_DEP_1)
	v_dual_add_nc_u32 v15, v15, v20 :: v_dual_add_nc_u32 v18, v18, v21
	ds_bpermute_b32 v20, v16, v18
	ds_bpermute_b32 v16, v16, v15
	s_wait_dscnt 0x1
	v_cndmask_b32_e64 v20, v20, 0, s3
	s_wait_dscnt 0x0
	v_cndmask_b32_e64 v16, v16, 0, s3
	s_delay_alu instid0(VALU_DEP_1) | instskip(NEXT) | instid1(VALU_DEP_3)
	v_add_nc_u32_e32 v15, v16, v15
	v_add_nc_u32_e32 v18, v20, v18
	ds_store_2addr_b32 v17, v15, v18 offset0:36 offset1:68
.LBB4_18:
	s_or_b32 exec_lo, exec_lo, s6
	s_wait_dscnt 0x0
	s_barrier_signal -1
	s_barrier_wait -1
	s_and_saveexec_b32 s2, s4
	s_cbranch_execz .LBB4_20
; %bb.19:
	v_add_nc_u32_e32 v15, 0x400, v19
	ds_load_2addr_b32 v[16:17], v15 offset0:35 offset1:67
	s_wait_dscnt 0x0
	v_dual_add_nc_u32 v13, v16, v13 :: v_dual_add_nc_u32 v14, v17, v14
.LBB4_20:
	s_or_b32 exec_lo, exec_lo, s2
	s_clause 0x2
	s_load_b64 s[2:3], s[0:1], 0x58
	s_load_b256 s[4:11], s[0:1], 0x38
	s_load_b128 s[12:15], s[0:1], 0x18
	s_and_saveexec_b32 s22, vcc_lo
	s_cbranch_execz .LBB4_30
; %bb.21:
	s_load_b128 s[16:19], s[0:1], 0x28
	s_mov_b32 s23, exec_lo
	s_wait_xcnt 0x0
	s_mov_b32 s1, 0
                                        ; implicit-def: $vgpr15
.LBB4_22:                               ; =>This Inner Loop Header: Depth=1
	s_ctz_i32_b32 s0, s23
	s_delay_alu instid0(SALU_CYCLE_1)
	v_readlane_b32 s24, v13, s0
	s_lshl_b32 s25, 1, s0
	v_writelane_b32 v15, s1, s0
	s_and_not1_b32 s23, s23, s25
	s_add_co_i32 s1, s1, s24
	s_cmp_lg_u32 s23, 0
	s_cbranch_scc1 .LBB4_22
; %bb.23:
	v_mbcnt_lo_u32_b32 v16, exec_lo, 0
	s_mov_b32 s0, 0
	s_delay_alu instid0(VALU_DEP_1) | instskip(SKIP_1) | instid1(SALU_CYCLE_1)
	v_cmp_eq_u32_e32 vcc_lo, 0, v16
                                        ; implicit-def: $vgpr16
	s_and_saveexec_b32 s23, vcc_lo
	s_xor_b32 s23, exec_lo, s23
	s_cbranch_execz .LBB4_25
; %bb.24:
	v_dual_mov_b32 v16, 0 :: v_dual_mov_b32 v17, s1
	s_wait_kmcnt 0x0
	global_atomic_add_u32 v16, v16, v17, s[16:17] th:TH_ATOMIC_RETURN scope:SCOPE_DEV
.LBB4_25:
	s_wait_xcnt 0x0
	s_or_b32 exec_lo, exec_lo, s23
	s_wait_loadcnt 0x0
	s_wait_kmcnt 0x0
	v_readfirstlane_b32 s16, v16
	s_mov_b32 s1, exec_lo
	v_dual_mov_b32 v16, 0 :: v_dual_add_nc_u32 v15, s16, v15
	ds_store_b32 v16, v15 offset:1292
                                        ; implicit-def: $vgpr15
.LBB4_26:                               ; =>This Inner Loop Header: Depth=1
	s_ctz_i32_b32 s16, s1
	s_delay_alu instid0(SALU_CYCLE_1)
	v_readlane_b32 s17, v14, s16
	s_lshl_b32 s23, 1, s16
	v_writelane_b32 v15, s0, s16
	s_and_not1_b32 s1, s1, s23
	s_add_co_i32 s0, s0, s17
	s_cmp_lg_u32 s1, 0
	s_cbranch_scc1 .LBB4_26
; %bb.27:
	v_mbcnt_lo_u32_b32 v14, exec_lo, 0
	s_delay_alu instid0(VALU_DEP_1) | instskip(SKIP_1) | instid1(SALU_CYCLE_1)
	v_cmp_eq_u32_e32 vcc_lo, 0, v14
                                        ; implicit-def: $vgpr14
	s_and_saveexec_b32 s1, vcc_lo
	s_xor_b32 s1, exec_lo, s1
	s_cbranch_execz .LBB4_29
; %bb.28:
	v_dual_mov_b32 v14, 0 :: v_dual_mov_b32 v16, s0
	global_atomic_add_u32 v14, v14, v16, s[18:19] th:TH_ATOMIC_RETURN scope:SCOPE_DEV
.LBB4_29:
	s_wait_xcnt 0x0
	s_or_b32 exec_lo, exec_lo, s1
	s_wait_loadcnt 0x0
	v_readfirstlane_b32 s0, v14
	s_delay_alu instid0(VALU_DEP_1)
	v_dual_mov_b32 v15, 0 :: v_dual_add_nc_u32 v14, s0, v15
	ds_store_b32 v15, v14 offset:1420
.LBB4_30:
	s_or_b32 exec_lo, exec_lo, s22
	v_dual_lshlrev_b32 v7, 5, v7 :: v_dual_lshlrev_b32 v14, 3, v1
	v_sub_nc_u32_e32 v9, v13, v9
	s_mov_b32 s16, 0
	s_mov_b32 s17, exec_lo
	s_delay_alu instid0(VALU_DEP_2) | instskip(NEXT) | instid1(VALU_DEP_2)
	v_add3_u32 v13, v7, v14, 0x390
	v_or_b32_e32 v7, v9, v11
	s_delay_alu instid0(VALU_DEP_2)
	v_lshl_add_u32 v9, v6, 1, v13
	ds_store_b16 v9, v7
	s_wait_dscnt 0x0
	s_barrier_signal -1
	s_barrier_wait -1
	v_cmpx_ne_u32_e32 0, v12
	s_cbranch_execz .LBB4_45
; %bb.31:
	v_dual_mov_b32 v7, 0 :: v_dual_lshlrev_b32 v15, 4, v8
	v_lshlrev_b32_e32 v16, 1, v6
	s_mov_b32 s18, 0
	ds_load_b32 v14, v7 offset:1292
	s_branch .LBB4_33
.LBB4_32:                               ;   in Loop: Header=BB4_33 Depth=1
	s_wait_xcnt 0x0
	s_or_b32 exec_lo, exec_lo, s19
	s_add_co_i32 s18, s18, 1
	s_delay_alu instid0(SALU_CYCLE_1) | instskip(SKIP_1) | instid1(SALU_CYCLE_1)
	v_cmp_eq_u32_e32 vcc_lo, s18, v12
	s_or_b32 s16, vcc_lo, s16
	s_and_not1_b32 exec_lo, exec_lo, s16
	s_cbranch_execz .LBB4_45
.LBB4_33:                               ; =>This Loop Header: Depth=1
                                        ;     Child Loop BB4_34 Depth 2
                                        ;     Child Loop BB4_38 Depth 2
                                        ;     Child Loop BB4_42 Depth 2
	v_mad_u32 v6, s18, 3, v15
	s_mov_b32 s19, exec_lo
	s_wait_xcnt 0x0
	s_mov_b64 s[0:1], 0
	s_wait_kmcnt 0x0
	global_load_b32 v8, v6, s[12:13] scale_offset
	s_wait_loadcnt 0x0
	global_load_b32 v8, v8, s[14:15] scale_offset
	s_wait_loadcnt 0x0
	v_dual_lshrrev_b32 v9, 11, v8 :: v_dual_lshrrev_b32 v17, 5, v8
	v_and_b32_e32 v18, 0xff, v8
	s_wait_xcnt 0x0
	v_lshrrev_b32_e32 v8, 24, v8
	s_delay_alu instid0(VALU_DEP_3) | instskip(SKIP_1) | instid1(VALU_DEP_3)
	v_and_b32_e32 v9, 0x1fe0, v9
	v_and_b32_e32 v17, 0x7f8, v17
	v_dual_lshlrev_b32 v18, 1, v18 :: v_dual_sub_nc_u32 v8, 16, v8
	s_delay_alu instid0(VALU_DEP_2) | instskip(NEXT) | instid1(VALU_DEP_1)
	v_add3_u32 v9, v13, v9, v17
	v_add3_u32 v9, v9, v16, v18
	ds_load_u16 v9, v9
	s_wait_dscnt 0x0
	v_lshrrev_b32_e32 v8, v8, v9
	v_and_b32_e32 v18, 0x1fff, v9
	s_delay_alu instid0(VALU_DEP_2) | instskip(SKIP_1) | instid1(VALU_DEP_2)
	v_bcnt_u32_b32 v17, v8, 0
	v_lshl_add_u64 v[8:9], v[6:7], 2, s[12:13]
	v_add3_u32 v6, v18, v14, v17
.LBB4_34:                               ;   Parent Loop BB4_33 Depth=1
                                        ; =>  This Inner Loop Header: Depth=2
	s_ctz_i32_b32 s24, s19
	s_delay_alu instid0(SALU_CYCLE_1) | instskip(NEXT) | instid1(VALU_DEP_2)
	v_readlane_b32 s23, v7, s24
	v_readlane_b32 s22, v6, s24
	s_lshl_b32 s24, 1, s24
	s_delay_alu instid0(SALU_CYCLE_1) | instskip(NEXT) | instid1(SALU_CYCLE_1)
	s_and_not1_b32 s19, s19, s24
	s_cmp_lg_u32 s19, 0
	s_add_nc_u64 s[0:1], s[0:1], s[22:23]
	s_cbranch_scc1 .LBB4_34
; %bb.35:                               ;   in Loop: Header=BB4_33 Depth=1
	v_mbcnt_lo_u32_b32 v6, exec_lo, 0
	s_mov_b32 s19, exec_lo
	s_delay_alu instid0(VALU_DEP_1)
	v_cmpx_eq_u32_e32 0, v6
	s_xor_b32 s19, exec_lo, s19
	s_cbranch_execz .LBB4_37
; %bb.36:                               ;   in Loop: Header=BB4_33 Depth=1
	v_mov_b64_e32 v[18:19], s[0:1]
	global_atomic_add_u64 v7, v[18:19], s[4:5] scope:SCOPE_DEV
.LBB4_37:                               ;   in Loop: Header=BB4_33 Depth=1
	s_wait_xcnt 0x0
	s_or_b32 exec_lo, exec_lo, s19
	global_load_b32 v6, v[8:9], off offset:4
	s_mov_b32 s19, exec_lo
	s_mov_b64 s[0:1], 0
	s_wait_loadcnt 0x0
	global_load_b32 v6, v6, s[14:15] scale_offset
	s_wait_loadcnt 0x0
	v_dual_lshrrev_b32 v17, 11, v6 :: v_dual_lshrrev_b32 v18, 5, v6
	v_and_b32_e32 v19, 0xff, v6
	s_wait_xcnt 0x0
	v_lshrrev_b32_e32 v6, 24, v6
	s_delay_alu instid0(VALU_DEP_3) | instskip(SKIP_1) | instid1(VALU_DEP_3)
	v_and_b32_e32 v17, 0x1fe0, v17
	v_and_b32_e32 v18, 0x7f8, v18
	v_dual_lshlrev_b32 v19, 1, v19 :: v_dual_sub_nc_u32 v6, 16, v6
	s_delay_alu instid0(VALU_DEP_2) | instskip(NEXT) | instid1(VALU_DEP_1)
	v_add3_u32 v17, v13, v17, v18
	v_add3_u32 v17, v17, v16, v19
	ds_load_u16 v17, v17
	s_wait_dscnt 0x0
	v_lshrrev_b32_e32 v6, v6, v17
	v_and_b32_e32 v17, 0x1fff, v17
	s_delay_alu instid0(VALU_DEP_2) | instskip(NEXT) | instid1(VALU_DEP_1)
	v_bcnt_u32_b32 v6, v6, 0
	v_add3_u32 v6, v17, v14, v6
.LBB4_38:                               ;   Parent Loop BB4_33 Depth=1
                                        ; =>  This Inner Loop Header: Depth=2
	s_ctz_i32_b32 s24, s19
	s_delay_alu instid0(SALU_CYCLE_1) | instskip(NEXT) | instid1(VALU_DEP_2)
	v_readlane_b32 s23, v7, s24
	v_readlane_b32 s22, v6, s24
	s_lshl_b32 s24, 1, s24
	s_delay_alu instid0(SALU_CYCLE_1) | instskip(NEXT) | instid1(SALU_CYCLE_1)
	s_and_not1_b32 s19, s19, s24
	s_cmp_lg_u32 s19, 0
	s_add_nc_u64 s[0:1], s[0:1], s[22:23]
	s_cbranch_scc1 .LBB4_38
; %bb.39:                               ;   in Loop: Header=BB4_33 Depth=1
	v_mbcnt_lo_u32_b32 v6, exec_lo, 0
	s_mov_b32 s19, exec_lo
	s_delay_alu instid0(VALU_DEP_1)
	v_cmpx_eq_u32_e32 0, v6
	s_xor_b32 s19, exec_lo, s19
	s_cbranch_execz .LBB4_41
; %bb.40:                               ;   in Loop: Header=BB4_33 Depth=1
	v_mov_b64_e32 v[18:19], s[0:1]
	global_atomic_add_u64 v7, v[18:19], s[4:5] scope:SCOPE_DEV
.LBB4_41:                               ;   in Loop: Header=BB4_33 Depth=1
	s_wait_xcnt 0x0
	s_or_b32 exec_lo, exec_lo, s19
	global_load_b32 v6, v[8:9], off offset:8
	s_mov_b32 s19, exec_lo
	s_mov_b64 s[0:1], 0
	s_wait_loadcnt 0x0
	global_load_b32 v6, v6, s[14:15] scale_offset
	s_wait_loadcnt 0x0
	s_wait_xcnt 0x1
	v_dual_lshrrev_b32 v8, 11, v6 :: v_dual_lshrrev_b32 v9, 5, v6
	v_and_b32_e32 v17, 0xff, v6
	s_wait_xcnt 0x0
	v_lshrrev_b32_e32 v6, 24, v6
	s_delay_alu instid0(VALU_DEP_3) | instskip(SKIP_1) | instid1(VALU_DEP_3)
	v_and_b32_e32 v8, 0x1fe0, v8
	v_and_b32_e32 v9, 0x7f8, v9
	v_dual_lshlrev_b32 v17, 1, v17 :: v_dual_sub_nc_u32 v6, 16, v6
	s_delay_alu instid0(VALU_DEP_2) | instskip(NEXT) | instid1(VALU_DEP_1)
	v_add3_u32 v8, v13, v8, v9
	v_add3_u32 v8, v8, v16, v17
	ds_load_u16 v8, v8
	s_wait_dscnt 0x0
	v_lshrrev_b32_e32 v6, v6, v8
	v_and_b32_e32 v8, 0x1fff, v8
	s_delay_alu instid0(VALU_DEP_2) | instskip(NEXT) | instid1(VALU_DEP_1)
	v_bcnt_u32_b32 v6, v6, 0
	v_add3_u32 v6, v8, v14, v6
.LBB4_42:                               ;   Parent Loop BB4_33 Depth=1
                                        ; =>  This Inner Loop Header: Depth=2
	s_ctz_i32_b32 s24, s19
	s_delay_alu instid0(SALU_CYCLE_1) | instskip(NEXT) | instid1(VALU_DEP_2)
	v_readlane_b32 s23, v7, s24
	v_readlane_b32 s22, v6, s24
	s_lshl_b32 s24, 1, s24
	s_delay_alu instid0(SALU_CYCLE_1) | instskip(NEXT) | instid1(SALU_CYCLE_1)
	s_and_not1_b32 s19, s19, s24
	s_cmp_lg_u32 s19, 0
	s_add_nc_u64 s[0:1], s[0:1], s[22:23]
	s_cbranch_scc1 .LBB4_42
; %bb.43:                               ;   in Loop: Header=BB4_33 Depth=1
	v_mbcnt_lo_u32_b32 v6, exec_lo, 0
	s_mov_b32 s19, exec_lo
	s_delay_alu instid0(VALU_DEP_1)
	v_cmpx_eq_u32_e32 0, v6
	s_xor_b32 s19, exec_lo, s19
	s_cbranch_execz .LBB4_32
; %bb.44:                               ;   in Loop: Header=BB4_33 Depth=1
	v_mov_b64_e32 v[8:9], s[0:1]
	global_atomic_add_u64 v7, v[8:9], s[4:5] scope:SCOPE_DEV
	s_branch .LBB4_32
.LBB4_45:
	s_or_b32 exec_lo, exec_lo, s17
	s_wait_xcnt 0x0
	s_mul_hi_u32 s0, s20, 0xc0c0c1
	v_mov_b64_e32 v[6:7], 0
	s_mulk_i32 s0, 0x154
	v_dual_mov_b32 v8, 0 :: v_dual_mov_b32 v9, 0
	s_sub_co_i32 s0, s20, s0
	s_delay_alu instid0(SALU_CYCLE_1) | instskip(SKIP_1) | instid1(VALU_DEP_1)
	v_mad_u32 v13, s0, 3, v1
	s_mov_b32 s0, exec_lo
	v_add_nc_u32_e32 v12, 0xfffffe00, v13
	v_cmpx_lt_u32_e32 0x7fff, v11
	s_cbranch_execz .LBB4_47
; %bb.46:
	ds_load_b32 v7, v10 offset:4
	v_dual_mov_b32 v6, s21 :: v_dual_add_nc_u32 v9, 1, v5
	v_mov_b32_e32 v1, s21
	v_cvt_f32_u32_e32 v15, v5
	s_delay_alu instid0(VALU_DEP_3) | instskip(SKIP_1) | instid1(VALU_DEP_3)
	v_cvt_f32_u32_e32 v14, v9
	s_wait_dscnt 0x0
	v_pk_add_f32 v[16:17], v[6:7], v[0:1] neg_lo:[0,1] neg_hi:[0,1]
	v_sub_f32_e32 v1, v7, v0
	s_delay_alu instid0(VALU_DEP_2) | instskip(NEXT) | instid1(VALU_DEP_1)
	v_pk_mul_f32 v[14:15], v[16:17], v[14:15]
	v_add_f32_e32 v5, v14, v15
	s_delay_alu instid0(VALU_DEP_1) | instskip(NEXT) | instid1(VALU_DEP_1)
	v_div_scale_f32 v6, null, v1, v1, v5
	v_rcp_f32_e32 v7, v6
	v_nop
	s_delay_alu instid0(TRANS32_DEP_1) | instskip(NEXT) | instid1(VALU_DEP_1)
	v_fma_f32 v9, -v6, v7, 1.0
	v_fmac_f32_e32 v7, v9, v7
	v_div_scale_f32 v9, vcc_lo, v5, v1, v5
	s_delay_alu instid0(VALU_DEP_1) | instskip(NEXT) | instid1(VALU_DEP_1)
	v_mul_f32_e32 v14, v9, v7
	v_fma_f32 v15, -v6, v14, v9
	s_delay_alu instid0(VALU_DEP_1) | instskip(NEXT) | instid1(VALU_DEP_1)
	v_fmac_f32_e32 v14, v15, v7
	v_fma_f32 v6, -v6, v14, v9
	s_delay_alu instid0(VALU_DEP_1) | instskip(NEXT) | instid1(VALU_DEP_1)
	v_div_fmas_f32 v6, v6, v7, v14
	v_div_fixup_f32 v1, v6, v1, v5
	v_cvt_f32_i32_e32 v6, v12
	s_delay_alu instid0(VALU_DEP_2) | instskip(NEXT) | instid1(VALU_DEP_2)
	v_add_f32_e32 v1, 0xc4000000, v1
	v_mul_f32_e32 v9, 0x3b000000, v6
	s_delay_alu instid0(VALU_DEP_2) | instskip(NEXT) | instid1(VALU_DEP_1)
	v_mul_f32_e32 v5, 0x3b000000, v1
	v_mov_b64_e32 v[6:7], v[4:5]
.LBB4_47:
	s_or_b32 exec_lo, exec_lo, s0
	v_and_b32_e32 v1, 0x4000, v11
	s_mov_b32 s0, exec_lo
	s_delay_alu instid0(VALU_DEP_1)
	v_cmpx_ne_u32_e32 0, v1
	s_cbranch_execz .LBB4_49
; %bb.48:
	ds_load_b32 v15, v10 offset:20
	v_dual_mov_b32 v14, s21 :: v_dual_add_nc_u32 v5, 1, v13
	v_mov_b32_e32 v1, s21
	v_cvt_f32_u32_e32 v17, v13
	s_delay_alu instid0(VALU_DEP_3) | instskip(SKIP_1) | instid1(VALU_DEP_3)
	v_cvt_f32_u32_e32 v16, v5
	s_wait_dscnt 0x0
	v_pk_add_f32 v[18:19], v[14:15], v[0:1] neg_lo:[0,1] neg_hi:[0,1]
	v_sub_f32_e32 v1, v15, v0
	s_delay_alu instid0(VALU_DEP_2) | instskip(NEXT) | instid1(VALU_DEP_1)
	v_pk_mul_f32 v[16:17], v[18:19], v[16:17]
	v_add_f32_e32 v5, v16, v17
	s_delay_alu instid0(VALU_DEP_1) | instskip(NEXT) | instid1(VALU_DEP_1)
	v_div_scale_f32 v8, null, v1, v1, v5
	v_rcp_f32_e32 v13, v8
	v_nop
	s_delay_alu instid0(TRANS32_DEP_1) | instskip(NEXT) | instid1(VALU_DEP_1)
	v_fma_f32 v14, -v8, v13, 1.0
	v_fmac_f32_e32 v13, v14, v13
	v_div_scale_f32 v15, vcc_lo, v5, v1, v5
	s_delay_alu instid0(VALU_DEP_1) | instskip(NEXT) | instid1(VALU_DEP_1)
	v_mul_f32_e32 v14, v15, v13
	v_fma_f32 v16, -v8, v14, v15
	s_delay_alu instid0(VALU_DEP_1) | instskip(NEXT) | instid1(VALU_DEP_1)
	v_fmac_f32_e32 v14, v16, v13
	v_fma_f32 v8, -v8, v14, v15
	s_delay_alu instid0(VALU_DEP_1) | instskip(NEXT) | instid1(VALU_DEP_1)
	v_div_fmas_f32 v8, v8, v13, v14
	v_div_fixup_f32 v1, v8, v1, v5
	s_delay_alu instid0(VALU_DEP_1) | instskip(NEXT) | instid1(VALU_DEP_1)
	v_dual_mov_b32 v8, v2 :: v_dual_add_f32 v1, 0xc4000000, v1
	v_mul_f32_e32 v5, 0x3b000000, v1
	s_delay_alu instid0(VALU_DEP_1)
	v_pk_add_f32 v[6:7], v[4:5], v[6:7]
.LBB4_49:
	s_or_b32 exec_lo, exec_lo, s0
	v_and_b32_e32 v1, 0x2000, v11
	s_mov_b32 s0, exec_lo
	s_delay_alu instid0(VALU_DEP_1)
	v_cmpx_ne_u32_e32 0, v1
	s_cbranch_execz .LBB4_51
; %bb.50:
	ds_load_b32 v5, v10 offset:100
	v_dual_mov_b32 v4, s21 :: v_dual_add_nc_u32 v10, 1, v3
	v_mov_b32_e32 v1, s21
	v_cvt_f32_u32_e32 v11, v3
	s_delay_alu instid0(VALU_DEP_3) | instskip(SKIP_1) | instid1(VALU_DEP_3)
	v_cvt_f32_u32_e32 v10, v10
	s_wait_dscnt 0x0
	v_pk_add_f32 v[14:15], v[4:5], v[0:1] neg_lo:[0,1] neg_hi:[0,1]
	v_sub_f32_e32 v0, v5, v0
	s_delay_alu instid0(VALU_DEP_2) | instskip(NEXT) | instid1(VALU_DEP_1)
	v_pk_mul_f32 v[10:11], v[14:15], v[10:11]
	v_add_f32_e32 v1, v10, v11
	s_delay_alu instid0(VALU_DEP_1) | instskip(NEXT) | instid1(VALU_DEP_1)
	v_div_scale_f32 v3, null, v0, v0, v1
	v_rcp_f32_e32 v4, v3
	v_nop
	s_delay_alu instid0(TRANS32_DEP_1) | instskip(NEXT) | instid1(VALU_DEP_1)
	v_fma_f32 v5, -v3, v4, 1.0
	v_fmac_f32_e32 v4, v5, v4
	v_div_scale_f32 v5, vcc_lo, v1, v0, v1
	s_delay_alu instid0(VALU_DEP_1) | instskip(NEXT) | instid1(VALU_DEP_1)
	v_mul_f32_e32 v10, v5, v4
	v_fma_f32 v11, -v3, v10, v5
	s_delay_alu instid0(VALU_DEP_1) | instskip(NEXT) | instid1(VALU_DEP_1)
	v_fmac_f32_e32 v10, v11, v4
	v_fma_f32 v3, -v3, v10, v5
	s_delay_alu instid0(VALU_DEP_1) | instskip(SKIP_1) | instid1(VALU_DEP_2)
	v_div_fmas_f32 v3, v3, v4, v10
	v_cvt_f32_i32_e32 v4, v12
	v_div_fixup_f32 v0, v3, v0, v1
	s_delay_alu instid0(VALU_DEP_2) | instskip(NEXT) | instid1(VALU_DEP_2)
	v_mul_f32_e32 v3, 0x3b000000, v4
	v_add_f32_e32 v0, 0xc4000000, v0
	s_delay_alu instid0(VALU_DEP_2) | instskip(NEXT) | instid1(VALU_DEP_2)
	v_pk_add_f32 v[8:9], v[2:3], v[8:9]
	v_fmamk_f32 v7, v0, 0x3b000000, v7
.LBB4_51:
	s_or_b32 exec_lo, exec_lo, s0
	s_delay_alu instid0(SALU_CYCLE_1)
	s_mov_b32 s1, exec_lo
	s_brev_b32 s0, 1
.LBB4_52:                               ; =>This Inner Loop Header: Depth=1
	s_wait_kmcnt 0x0
	s_ctz_i32_b32 s4, s1
	s_delay_alu instid0(SALU_CYCLE_1) | instskip(SKIP_1) | instid1(SALU_CYCLE_1)
	v_readlane_b32 s5, v8, s4
	s_lshl_b32 s4, 1, s4
	s_and_not1_b32 s1, s1, s4
	s_delay_alu instid0(SALU_CYCLE_1)
	s_cmp_lg_u32 s1, 0
	s_add_f32 s0, s0, s5
	s_cbranch_scc1 .LBB4_52
; %bb.53:
	v_mbcnt_lo_u32_b32 v0, exec_lo, 0
	s_mov_b32 s1, exec_lo
	s_delay_alu instid0(VALU_DEP_1)
	v_cmpx_eq_u32_e32 0, v0
	s_xor_b32 s1, exec_lo, s1
	s_cbranch_execz .LBB4_55
; %bb.54:
	v_dual_mov_b32 v0, 0 :: v_dual_mov_b32 v1, s0
	global_atomic_add_f32 v0, v1, s[6:7] scope:SCOPE_DEV
.LBB4_55:
	s_wait_xcnt 0x0
	s_or_b32 exec_lo, exec_lo, s1
	s_delay_alu instid0(SALU_CYCLE_1)
	s_mov_b32 s1, exec_lo
	s_brev_b32 s0, 1
.LBB4_56:                               ; =>This Inner Loop Header: Depth=1
	s_ctz_i32_b32 s4, s1
	s_delay_alu instid0(SALU_CYCLE_1) | instskip(SKIP_1) | instid1(SALU_CYCLE_1)
	v_readlane_b32 s5, v9, s4
	s_lshl_b32 s4, 1, s4
	s_and_not1_b32 s1, s1, s4
	s_delay_alu instid0(SALU_CYCLE_1)
	s_cmp_lg_u32 s1, 0
	s_add_f32 s0, s0, s5
	s_cbranch_scc1 .LBB4_56
; %bb.57:
	v_mbcnt_lo_u32_b32 v0, exec_lo, 0
	s_mov_b32 s1, exec_lo
	s_delay_alu instid0(VALU_DEP_1)
	v_cmpx_eq_u32_e32 0, v0
	s_xor_b32 s1, exec_lo, s1
	s_cbranch_execz .LBB4_59
; %bb.58:
	v_dual_mov_b32 v0, 0 :: v_dual_mov_b32 v1, s0
	global_atomic_add_f32 v0, v1, s[8:9] scope:SCOPE_DEV
.LBB4_59:
	s_wait_xcnt 0x0
	s_or_b32 exec_lo, exec_lo, s1
	s_delay_alu instid0(SALU_CYCLE_1)
	s_mov_b32 s1, exec_lo
	s_brev_b32 s0, 1
.LBB4_60:                               ; =>This Inner Loop Header: Depth=1
	s_ctz_i32_b32 s4, s1
	s_delay_alu instid0(SALU_CYCLE_1) | instskip(SKIP_1) | instid1(SALU_CYCLE_1)
	v_readlane_b32 s5, v6, s4
	s_lshl_b32 s4, 1, s4
	s_and_not1_b32 s1, s1, s4
	s_delay_alu instid0(SALU_CYCLE_1)
	s_cmp_lg_u32 s1, 0
	s_add_f32 s0, s0, s5
	s_cbranch_scc1 .LBB4_60
	;; [unrolled: 26-line block ×3, first 2 shown]
; %bb.65:
	v_mbcnt_lo_u32_b32 v0, exec_lo, 0
	s_mov_b32 s1, exec_lo
	s_delay_alu instid0(VALU_DEP_1)
	v_cmpx_eq_u32_e32 0, v0
	s_xor_b32 s1, exec_lo, s1
	s_cbranch_execz .LBB4_67
; %bb.66:
	v_dual_mov_b32 v0, 0 :: v_dual_mov_b32 v1, s0
	global_atomic_add_f32 v0, v1, s[2:3] scope:SCOPE_DEV
.LBB4_67:
	s_endpgm
	.section	.rodata,"a",@progbits
	.p2align	6, 0x0
	.amdhsa_kernel _Z19generatingTrianglesfPKjPKtPKiPK15HIP_vector_typeIhLj4EEPjS9_PyPfSB_SB_SB_
		.amdhsa_group_segment_fixed_size 1424
		.amdhsa_private_segment_fixed_size 0
		.amdhsa_kernarg_size 96
		.amdhsa_user_sgpr_count 2
		.amdhsa_user_sgpr_dispatch_ptr 0
		.amdhsa_user_sgpr_queue_ptr 0
		.amdhsa_user_sgpr_kernarg_segment_ptr 1
		.amdhsa_user_sgpr_dispatch_id 0
		.amdhsa_user_sgpr_kernarg_preload_length 0
		.amdhsa_user_sgpr_kernarg_preload_offset 0
		.amdhsa_user_sgpr_private_segment_size 0
		.amdhsa_wavefront_size32 1
		.amdhsa_uses_dynamic_stack 0
		.amdhsa_enable_private_segment 0
		.amdhsa_system_sgpr_workgroup_id_x 1
		.amdhsa_system_sgpr_workgroup_id_y 0
		.amdhsa_system_sgpr_workgroup_id_z 0
		.amdhsa_system_sgpr_workgroup_info 0
		.amdhsa_system_vgpr_workitem_id 2
		.amdhsa_next_free_vgpr 23
		.amdhsa_next_free_sgpr 26
		.amdhsa_named_barrier_count 0
		.amdhsa_reserve_vcc 1
		.amdhsa_float_round_mode_32 0
		.amdhsa_float_round_mode_16_64 0
		.amdhsa_float_denorm_mode_32 3
		.amdhsa_float_denorm_mode_16_64 3
		.amdhsa_fp16_overflow 0
		.amdhsa_memory_ordered 1
		.amdhsa_forward_progress 1
		.amdhsa_inst_pref_size 34
		.amdhsa_round_robin_scheduling 0
		.amdhsa_exception_fp_ieee_invalid_op 0
		.amdhsa_exception_fp_denorm_src 0
		.amdhsa_exception_fp_ieee_div_zero 0
		.amdhsa_exception_fp_ieee_overflow 0
		.amdhsa_exception_fp_ieee_underflow 0
		.amdhsa_exception_fp_ieee_inexact 0
		.amdhsa_exception_int_div_zero 0
	.end_amdhsa_kernel
	.text
.Lfunc_end4:
	.size	_Z19generatingTrianglesfPKjPKtPKiPK15HIP_vector_typeIhLj4EEPjS9_PyPfSB_SB_SB_, .Lfunc_end4-_Z19generatingTrianglesfPKjPKtPKiPK15HIP_vector_typeIhLj4EEPjS9_PyPfSB_SB_SB_
                                        ; -- End function
	.set _Z19generatingTrianglesfPKjPKtPKiPK15HIP_vector_typeIhLj4EEPjS9_PyPfSB_SB_SB_.num_vgpr, 23
	.set _Z19generatingTrianglesfPKjPKtPKiPK15HIP_vector_typeIhLj4EEPjS9_PyPfSB_SB_SB_.num_agpr, 0
	.set _Z19generatingTrianglesfPKjPKtPKiPK15HIP_vector_typeIhLj4EEPjS9_PyPfSB_SB_SB_.numbered_sgpr, 26
	.set _Z19generatingTrianglesfPKjPKtPKiPK15HIP_vector_typeIhLj4EEPjS9_PyPfSB_SB_SB_.num_named_barrier, 0
	.set _Z19generatingTrianglesfPKjPKtPKiPK15HIP_vector_typeIhLj4EEPjS9_PyPfSB_SB_SB_.private_seg_size, 0
	.set _Z19generatingTrianglesfPKjPKtPKiPK15HIP_vector_typeIhLj4EEPjS9_PyPfSB_SB_SB_.uses_vcc, 1
	.set _Z19generatingTrianglesfPKjPKtPKiPK15HIP_vector_typeIhLj4EEPjS9_PyPfSB_SB_SB_.uses_flat_scratch, 0
	.set _Z19generatingTrianglesfPKjPKtPKiPK15HIP_vector_typeIhLj4EEPjS9_PyPfSB_SB_SB_.has_dyn_sized_stack, 0
	.set _Z19generatingTrianglesfPKjPKtPKiPK15HIP_vector_typeIhLj4EEPjS9_PyPfSB_SB_SB_.has_recursion, 0
	.set _Z19generatingTrianglesfPKjPKtPKiPK15HIP_vector_typeIhLj4EEPjS9_PyPfSB_SB_SB_.has_indirect_call, 0
	.section	.AMDGPU.csdata,"",@progbits
; Kernel info:
; codeLenInByte = 4284
; TotalNumSgprs: 28
; NumVgprs: 23
; ScratchSize: 0
; MemoryBound: 0
; FloatMode: 240
; IeeeMode: 1
; LDSByteSize: 1424 bytes/workgroup (compile time only)
; SGPRBlocks: 0
; VGPRBlocks: 1
; NumSGPRsForWavesPerEU: 28
; NumVGPRsForWavesPerEU: 23
; NamedBarCnt: 0
; Occupancy: 16
; WaveLimiterHint : 1
; COMPUTE_PGM_RSRC2:SCRATCH_EN: 0
; COMPUTE_PGM_RSRC2:USER_SGPR: 2
; COMPUTE_PGM_RSRC2:TRAP_HANDLER: 0
; COMPUTE_PGM_RSRC2:TGID_X_EN: 1
; COMPUTE_PGM_RSRC2:TGID_Y_EN: 0
; COMPUTE_PGM_RSRC2:TGID_Z_EN: 0
; COMPUTE_PGM_RSRC2:TIDIG_COMP_CNT: 2
	.text
	.p2alignl 7, 3214868480
	.fill 96, 4, 3214868480
	.section	.AMDGPU.gpr_maximums,"",@progbits
	.set amdgpu.max_num_vgpr, 0
	.set amdgpu.max_num_agpr, 0
	.set amdgpu.max_num_sgpr, 0
	.text
	.type	__hip_cuid_63945aa28a213651,@object ; @__hip_cuid_63945aa28a213651
	.section	.bss,"aw",@nobits
	.globl	__hip_cuid_63945aa28a213651
__hip_cuid_63945aa28a213651:
	.byte	0                               ; 0x0
	.size	__hip_cuid_63945aa28a213651, 1

	.ident	"AMD clang version 22.0.0git (https://github.com/RadeonOpenCompute/llvm-project roc-7.2.4 26084 f58b06dce1f9c15707c5f808fd002e18c2accf7e)"
	.section	".note.GNU-stack","",@progbits
	.addrsig
	.addrsig_sym __hip_cuid_63945aa28a213651
	.amdgpu_metadata
---
amdhsa.kernels:
  - .args:
      - .actual_access:  write_only
        .address_space:  global
        .offset:         0
        .size:           8
        .value_kind:     global_buffer
    .group_segment_fixed_size: 256
    .kernarg_segment_align: 8
    .kernarg_segment_size: 8
    .language:       OpenCL C
    .language_version:
      - 2
      - 0
    .max_flat_workgroup_size: 1024
    .name:           _Z16computeMinMaxLv1Pf
    .private_segment_fixed_size: 0
    .sgpr_count:     18
    .sgpr_spill_count: 0
    .symbol:         _Z16computeMinMaxLv1Pf.kd
    .uniform_work_group_size: 1
    .uses_dynamic_stack: false
    .vgpr_count:     24
    .vgpr_spill_count: 0
    .wavefront_size: 32
  - .args:
      - .offset:         0
        .size:           4
        .value_kind:     by_value
      - .actual_access:  read_only
        .address_space:  global
        .offset:         8
        .size:           8
        .value_kind:     global_buffer
      - .actual_access:  write_only
        .address_space:  global
        .offset:         16
        .size:           8
        .value_kind:     global_buffer
      - .address_space:  global
        .offset:         24
        .size:           8
        .value_kind:     global_buffer
    .group_segment_fixed_size: 128
    .kernarg_segment_align: 8
    .kernarg_segment_size: 32
    .language:       OpenCL C
    .language_version:
      - 2
      - 0
    .max_flat_workgroup_size: 1024
    .name:           _Z10compactLv1fPKfPjS1_
    .private_segment_fixed_size: 0
    .sgpr_count:     13
    .sgpr_spill_count: 0
    .symbol:         _Z10compactLv1fPKfPjS1_.kd
    .uniform_work_group_size: 1
    .uses_dynamic_stack: false
    .vgpr_count:     9
    .vgpr_spill_count: 0
    .wavefront_size: 32
  - .args:
      - .actual_access:  read_only
        .address_space:  global
        .offset:         0
        .size:           8
        .value_kind:     global_buffer
      - .actual_access:  write_only
        .address_space:  global
        .offset:         8
        .size:           8
        .value_kind:     global_buffer
    .group_segment_fixed_size: 0
    .kernarg_segment_align: 8
    .kernarg_segment_size: 16
    .language:       OpenCL C
    .language_version:
      - 2
      - 0
    .max_flat_workgroup_size: 1024
    .name:           _Z16computeMinMaxLv2PKjPf
    .private_segment_fixed_size: 0
    .sgpr_count:     11
    .sgpr_spill_count: 0
    .symbol:         _Z16computeMinMaxLv2PKjPf.kd
    .uniform_work_group_size: 1
    .uses_dynamic_stack: false
    .vgpr_count:     17
    .vgpr_spill_count: 0
    .wavefront_size: 32
  - .args:
      - .offset:         0
        .size:           4
        .value_kind:     by_value
      - .actual_access:  read_only
        .address_space:  global
        .offset:         8
        .size:           8
        .value_kind:     global_buffer
      - .actual_access:  read_only
        .address_space:  global
        .offset:         16
        .size:           8
        .value_kind:     global_buffer
      - .actual_access:  write_only
        .address_space:  global
        .offset:         24
        .size:           8
        .value_kind:     global_buffer
      - .offset:         32
        .size:           4
        .value_kind:     by_value
      - .address_space:  global
        .offset:         40
        .size:           8
        .value_kind:     global_buffer
    .group_segment_fixed_size: 128
    .kernarg_segment_align: 8
    .kernarg_segment_size: 48
    .language:       OpenCL C
    .language_version:
      - 2
      - 0
    .max_flat_workgroup_size: 1024
    .name:           _Z10compactLv2fPKfPKjPjjS3_
    .private_segment_fixed_size: 0
    .sgpr_count:     15
    .sgpr_spill_count: 0
    .symbol:         _Z10compactLv2fPKfPKjPjjS3_.kd
    .uniform_work_group_size: 1
    .uses_dynamic_stack: false
    .vgpr_count:     12
    .vgpr_spill_count: 0
    .wavefront_size: 32
  - .args:
      - .offset:         0
        .size:           4
        .value_kind:     by_value
      - .actual_access:  read_only
        .address_space:  global
        .offset:         8
        .size:           8
        .value_kind:     global_buffer
      - .actual_access:  read_only
        .address_space:  global
        .offset:         16
        .size:           8
        .value_kind:     global_buffer
      - .actual_access:  read_only
        .address_space:  global
        .offset:         24
        .size:           8
        .value_kind:     global_buffer
      - .actual_access:  read_only
        .address_space:  global
        .offset:         32
        .size:           8
        .value_kind:     global_buffer
      - .address_space:  global
        .offset:         40
        .size:           8
        .value_kind:     global_buffer
      - .address_space:  global
        .offset:         48
        .size:           8
        .value_kind:     global_buffer
      - .address_space:  global
        .offset:         56
        .size:           8
        .value_kind:     global_buffer
      - .address_space:  global
        .offset:         64
        .size:           8
        .value_kind:     global_buffer
      - .address_space:  global
        .offset:         72
        .size:           8
        .value_kind:     global_buffer
      - .address_space:  global
        .offset:         80
        .size:           8
        .value_kind:     global_buffer
      - .address_space:  global
        .offset:         88
        .size:           8
        .value_kind:     global_buffer
    .group_segment_fixed_size: 1424
    .kernarg_segment_align: 8
    .kernarg_segment_size: 96
    .language:       OpenCL C
    .language_version:
      - 2
      - 0
    .max_flat_workgroup_size: 1024
    .name:           _Z19generatingTrianglesfPKjPKtPKiPK15HIP_vector_typeIhLj4EEPjS9_PyPfSB_SB_SB_
    .private_segment_fixed_size: 0
    .sgpr_count:     28
    .sgpr_spill_count: 0
    .symbol:         _Z19generatingTrianglesfPKjPKtPKiPK15HIP_vector_typeIhLj4EEPjS9_PyPfSB_SB_SB_.kd
    .uniform_work_group_size: 1
    .uses_dynamic_stack: false
    .vgpr_count:     23
    .vgpr_spill_count: 0
    .wavefront_size: 32
amdhsa.target:   amdgcn-amd-amdhsa--gfx1250
amdhsa.version:
  - 1
  - 2
...

	.end_amdgpu_metadata
